;; amdgpu-corpus repo=ROCm/rocFFT kind=compiled arch=gfx906 opt=O3
	.text
	.amdgcn_target "amdgcn-amd-amdhsa--gfx906"
	.amdhsa_code_object_version 6
	.protected	fft_rtc_fwd_len1248_factors_2_2_13_2_3_2_2_wgs_52_tpt_52_halfLds_dp_ip_CI_sbrr_dirReg ; -- Begin function fft_rtc_fwd_len1248_factors_2_2_13_2_3_2_2_wgs_52_tpt_52_halfLds_dp_ip_CI_sbrr_dirReg
	.globl	fft_rtc_fwd_len1248_factors_2_2_13_2_3_2_2_wgs_52_tpt_52_halfLds_dp_ip_CI_sbrr_dirReg
	.p2align	8
	.type	fft_rtc_fwd_len1248_factors_2_2_13_2_3_2_2_wgs_52_tpt_52_halfLds_dp_ip_CI_sbrr_dirReg,@function
fft_rtc_fwd_len1248_factors_2_2_13_2_3_2_2_wgs_52_tpt_52_halfLds_dp_ip_CI_sbrr_dirReg: ; @fft_rtc_fwd_len1248_factors_2_2_13_2_3_2_2_wgs_52_tpt_52_halfLds_dp_ip_CI_sbrr_dirReg
; %bb.0:
	s_load_dwordx2 s[14:15], s[4:5], 0x18
	s_load_dwordx4 s[8:11], s[4:5], 0x0
	s_load_dwordx2 s[12:13], s[4:5], 0x50
	v_mul_u32_u24_e32 v1, 0x4ed, v0
	v_add_u32_sdwa v5, s6, v1 dst_sel:DWORD dst_unused:UNUSED_PAD src0_sel:DWORD src1_sel:WORD_1
	s_waitcnt lgkmcnt(0)
	s_load_dwordx2 s[2:3], s[14:15], 0x0
	v_cmp_lt_u64_e64 s[0:1], s[10:11], 2
	v_mov_b32_e32 v3, 0
	v_mov_b32_e32 v1, 0
	;; [unrolled: 1-line block ×3, first 2 shown]
	s_and_b64 vcc, exec, s[0:1]
	v_mov_b32_e32 v2, 0
	s_cbranch_vccnz .LBB0_8
; %bb.1:
	s_load_dwordx2 s[0:1], s[4:5], 0x10
	s_add_u32 s6, s14, 8
	s_addc_u32 s7, s15, 0
	v_mov_b32_e32 v1, 0
	v_mov_b32_e32 v2, 0
	s_waitcnt lgkmcnt(0)
	s_add_u32 s16, s0, 8
	s_addc_u32 s17, s1, 0
	s_mov_b64 s[18:19], 1
.LBB0_2:                                ; =>This Inner Loop Header: Depth=1
	s_load_dwordx2 s[20:21], s[16:17], 0x0
                                        ; implicit-def: $vgpr7_vgpr8
	s_waitcnt lgkmcnt(0)
	v_or_b32_e32 v4, s21, v6
	v_cmp_ne_u64_e32 vcc, 0, v[3:4]
	s_and_saveexec_b64 s[0:1], vcc
	s_xor_b64 s[22:23], exec, s[0:1]
	s_cbranch_execz .LBB0_4
; %bb.3:                                ;   in Loop: Header=BB0_2 Depth=1
	v_cvt_f32_u32_e32 v4, s20
	v_cvt_f32_u32_e32 v7, s21
	s_sub_u32 s0, 0, s20
	s_subb_u32 s1, 0, s21
	v_mac_f32_e32 v4, 0x4f800000, v7
	v_rcp_f32_e32 v4, v4
	v_mul_f32_e32 v4, 0x5f7ffffc, v4
	v_mul_f32_e32 v7, 0x2f800000, v4
	v_trunc_f32_e32 v7, v7
	v_mac_f32_e32 v4, 0xcf800000, v7
	v_cvt_u32_f32_e32 v7, v7
	v_cvt_u32_f32_e32 v4, v4
	v_mul_lo_u32 v8, s0, v7
	v_mul_hi_u32 v9, s0, v4
	v_mul_lo_u32 v11, s1, v4
	v_mul_lo_u32 v10, s0, v4
	v_add_u32_e32 v8, v9, v8
	v_add_u32_e32 v8, v8, v11
	v_mul_hi_u32 v9, v4, v10
	v_mul_lo_u32 v11, v4, v8
	v_mul_hi_u32 v13, v4, v8
	v_mul_hi_u32 v12, v7, v10
	v_mul_lo_u32 v10, v7, v10
	v_mul_hi_u32 v14, v7, v8
	v_add_co_u32_e32 v9, vcc, v9, v11
	v_addc_co_u32_e32 v11, vcc, 0, v13, vcc
	v_mul_lo_u32 v8, v7, v8
	v_add_co_u32_e32 v9, vcc, v9, v10
	v_addc_co_u32_e32 v9, vcc, v11, v12, vcc
	v_addc_co_u32_e32 v10, vcc, 0, v14, vcc
	v_add_co_u32_e32 v8, vcc, v9, v8
	v_addc_co_u32_e32 v9, vcc, 0, v10, vcc
	v_add_co_u32_e32 v4, vcc, v4, v8
	v_addc_co_u32_e32 v7, vcc, v7, v9, vcc
	v_mul_lo_u32 v8, s0, v7
	v_mul_hi_u32 v9, s0, v4
	v_mul_lo_u32 v10, s1, v4
	v_mul_lo_u32 v11, s0, v4
	v_add_u32_e32 v8, v9, v8
	v_add_u32_e32 v8, v8, v10
	v_mul_lo_u32 v12, v4, v8
	v_mul_hi_u32 v13, v4, v11
	v_mul_hi_u32 v14, v4, v8
	;; [unrolled: 1-line block ×3, first 2 shown]
	v_mul_lo_u32 v11, v7, v11
	v_mul_hi_u32 v9, v7, v8
	v_add_co_u32_e32 v12, vcc, v13, v12
	v_addc_co_u32_e32 v13, vcc, 0, v14, vcc
	v_mul_lo_u32 v8, v7, v8
	v_add_co_u32_e32 v11, vcc, v12, v11
	v_addc_co_u32_e32 v10, vcc, v13, v10, vcc
	v_addc_co_u32_e32 v9, vcc, 0, v9, vcc
	v_add_co_u32_e32 v8, vcc, v10, v8
	v_addc_co_u32_e32 v9, vcc, 0, v9, vcc
	v_add_co_u32_e32 v4, vcc, v4, v8
	v_addc_co_u32_e32 v9, vcc, v7, v9, vcc
	v_mad_u64_u32 v[7:8], s[0:1], v5, v9, 0
	v_mul_hi_u32 v10, v5, v4
	v_add_co_u32_e32 v11, vcc, v10, v7
	v_addc_co_u32_e32 v12, vcc, 0, v8, vcc
	v_mad_u64_u32 v[7:8], s[0:1], v6, v4, 0
	v_mad_u64_u32 v[9:10], s[0:1], v6, v9, 0
	v_add_co_u32_e32 v4, vcc, v11, v7
	v_addc_co_u32_e32 v4, vcc, v12, v8, vcc
	v_addc_co_u32_e32 v7, vcc, 0, v10, vcc
	v_add_co_u32_e32 v4, vcc, v4, v9
	v_addc_co_u32_e32 v9, vcc, 0, v7, vcc
	v_mul_lo_u32 v10, s21, v4
	v_mul_lo_u32 v11, s20, v9
	v_mad_u64_u32 v[7:8], s[0:1], s20, v4, 0
	v_add3_u32 v8, v8, v11, v10
	v_sub_u32_e32 v10, v6, v8
	v_mov_b32_e32 v11, s21
	v_sub_co_u32_e32 v7, vcc, v5, v7
	v_subb_co_u32_e64 v10, s[0:1], v10, v11, vcc
	v_subrev_co_u32_e64 v11, s[0:1], s20, v7
	v_subbrev_co_u32_e64 v10, s[0:1], 0, v10, s[0:1]
	v_cmp_le_u32_e64 s[0:1], s21, v10
	v_cndmask_b32_e64 v12, 0, -1, s[0:1]
	v_cmp_le_u32_e64 s[0:1], s20, v11
	v_cndmask_b32_e64 v11, 0, -1, s[0:1]
	v_cmp_eq_u32_e64 s[0:1], s21, v10
	v_cndmask_b32_e64 v10, v12, v11, s[0:1]
	v_add_co_u32_e64 v11, s[0:1], 2, v4
	v_addc_co_u32_e64 v12, s[0:1], 0, v9, s[0:1]
	v_add_co_u32_e64 v13, s[0:1], 1, v4
	v_addc_co_u32_e64 v14, s[0:1], 0, v9, s[0:1]
	v_subb_co_u32_e32 v8, vcc, v6, v8, vcc
	v_cmp_ne_u32_e64 s[0:1], 0, v10
	v_cmp_le_u32_e32 vcc, s21, v8
	v_cndmask_b32_e64 v10, v14, v12, s[0:1]
	v_cndmask_b32_e64 v12, 0, -1, vcc
	v_cmp_le_u32_e32 vcc, s20, v7
	v_cndmask_b32_e64 v7, 0, -1, vcc
	v_cmp_eq_u32_e32 vcc, s21, v8
	v_cndmask_b32_e32 v7, v12, v7, vcc
	v_cmp_ne_u32_e32 vcc, 0, v7
	v_cndmask_b32_e64 v7, v13, v11, s[0:1]
	v_cndmask_b32_e32 v8, v9, v10, vcc
	v_cndmask_b32_e32 v7, v4, v7, vcc
.LBB0_4:                                ;   in Loop: Header=BB0_2 Depth=1
	s_andn2_saveexec_b64 s[0:1], s[22:23]
	s_cbranch_execz .LBB0_6
; %bb.5:                                ;   in Loop: Header=BB0_2 Depth=1
	v_cvt_f32_u32_e32 v4, s20
	s_sub_i32 s22, 0, s20
	v_rcp_iflag_f32_e32 v4, v4
	v_mul_f32_e32 v4, 0x4f7ffffe, v4
	v_cvt_u32_f32_e32 v4, v4
	v_mul_lo_u32 v7, s22, v4
	v_mul_hi_u32 v7, v4, v7
	v_add_u32_e32 v4, v4, v7
	v_mul_hi_u32 v4, v5, v4
	v_mul_lo_u32 v7, v4, s20
	v_add_u32_e32 v8, 1, v4
	v_sub_u32_e32 v7, v5, v7
	v_subrev_u32_e32 v9, s20, v7
	v_cmp_le_u32_e32 vcc, s20, v7
	v_cndmask_b32_e32 v7, v7, v9, vcc
	v_cndmask_b32_e32 v4, v4, v8, vcc
	v_add_u32_e32 v8, 1, v4
	v_cmp_le_u32_e32 vcc, s20, v7
	v_cndmask_b32_e32 v7, v4, v8, vcc
	v_mov_b32_e32 v8, v3
.LBB0_6:                                ;   in Loop: Header=BB0_2 Depth=1
	s_or_b64 exec, exec, s[0:1]
	v_mul_lo_u32 v4, v8, s20
	v_mul_lo_u32 v11, v7, s21
	v_mad_u64_u32 v[9:10], s[0:1], v7, s20, 0
	s_load_dwordx2 s[0:1], s[6:7], 0x0
	s_add_u32 s18, s18, 1
	v_add3_u32 v4, v10, v11, v4
	v_sub_co_u32_e32 v5, vcc, v5, v9
	v_subb_co_u32_e32 v4, vcc, v6, v4, vcc
	s_waitcnt lgkmcnt(0)
	v_mul_lo_u32 v4, s0, v4
	v_mul_lo_u32 v6, s1, v5
	v_mad_u64_u32 v[1:2], s[0:1], s0, v5, v[1:2]
	s_addc_u32 s19, s19, 0
	s_add_u32 s6, s6, 8
	v_add3_u32 v2, v6, v2, v4
	v_mov_b32_e32 v4, s10
	v_mov_b32_e32 v5, s11
	s_addc_u32 s7, s7, 0
	v_cmp_ge_u64_e32 vcc, s[18:19], v[4:5]
	s_add_u32 s16, s16, 8
	s_addc_u32 s17, s17, 0
	s_cbranch_vccnz .LBB0_9
; %bb.7:                                ;   in Loop: Header=BB0_2 Depth=1
	v_mov_b32_e32 v5, v7
	v_mov_b32_e32 v6, v8
	s_branch .LBB0_2
.LBB0_8:
	v_mov_b32_e32 v8, v6
	v_mov_b32_e32 v7, v5
.LBB0_9:
	s_lshl_b64 s[0:1], s[10:11], 3
	s_add_u32 s0, s14, s0
	s_addc_u32 s1, s15, s1
	s_load_dwordx2 s[6:7], s[0:1], 0x0
	s_load_dwordx2 s[10:11], s[4:5], 0x20
                                        ; implicit-def: $vgpr118
                                        ; implicit-def: $vgpr108
                                        ; implicit-def: $vgpr110
                                        ; implicit-def: $vgpr112
                                        ; implicit-def: $vgpr115
                                        ; implicit-def: $vgpr104
                                        ; implicit-def: $vgpr105
                                        ; implicit-def: $vgpr106
                                        ; implicit-def: $vgpr107
                                        ; implicit-def: $vgpr114
                                        ; implicit-def: $vgpr117
	s_waitcnt lgkmcnt(0)
	v_mad_u64_u32 v[1:2], s[0:1], s6, v7, v[1:2]
	s_mov_b32 s0, 0x4ec4ec5
	v_mul_lo_u32 v3, s6, v8
	v_mul_lo_u32 v4, s7, v7
	v_mul_hi_u32 v5, v0, s0
	v_cmp_gt_u64_e32 vcc, s[10:11], v[7:8]
	v_cmp_le_u64_e64 s[0:1], s[10:11], v[7:8]
	v_add3_u32 v2, v4, v2, v3
	v_mul_u32_u24_e32 v3, 52, v5
	v_sub_u32_e32 v100, v0, v3
	v_add_u32_e32 v149, 52, v100
	s_and_saveexec_b64 s[4:5], s[0:1]
	s_xor_b64 s[0:1], exec, s[4:5]
; %bb.10:
	v_add_u32_e32 v118, 52, v100
	v_add_u32_e32 v108, 0x68, v100
	;; [unrolled: 1-line block ×11, first 2 shown]
; %bb.11:
	s_or_saveexec_b64 s[4:5], s[0:1]
	v_lshlrev_b64 v[102:103], 4, v[1:2]
                                        ; implicit-def: $vgpr54_vgpr55
                                        ; implicit-def: $vgpr18_vgpr19
                                        ; implicit-def: $vgpr50_vgpr51
                                        ; implicit-def: $vgpr22_vgpr23
                                        ; implicit-def: $vgpr58_vgpr59
                                        ; implicit-def: $vgpr26_vgpr27
                                        ; implicit-def: $vgpr62_vgpr63
                                        ; implicit-def: $vgpr34_vgpr35
                                        ; implicit-def: $vgpr66_vgpr67
                                        ; implicit-def: $vgpr2_vgpr3
                                        ; implicit-def: $vgpr30_vgpr31
                                        ; implicit-def: $vgpr6_vgpr7
                                        ; implicit-def: $vgpr38_vgpr39
                                        ; implicit-def: $vgpr10_vgpr11
                                        ; implicit-def: $vgpr42_vgpr43
                                        ; implicit-def: $vgpr14_vgpr15
                                        ; implicit-def: $vgpr70_vgpr71
                                        ; implicit-def: $vgpr46_vgpr47
                                        ; implicit-def: $vgpr82_vgpr83
                                        ; implicit-def: $vgpr74_vgpr75
                                        ; implicit-def: $vgpr86_vgpr87
                                        ; implicit-def: $vgpr78_vgpr79
                                        ; implicit-def: $vgpr94_vgpr95
                                        ; implicit-def: $vgpr90_vgpr91
	s_xor_b64 exec, exec, s[4:5]
	s_cbranch_execz .LBB0_13
; %bb.12:
	v_mad_u64_u32 v[2:3], s[0:1], s2, v100, 0
	v_add_u32_e32 v7, 0x270, v100
	v_mad_u64_u32 v[4:5], s[0:1], s2, v7, 0
	v_mov_b32_e32 v0, v3
	v_mad_u64_u32 v[0:1], s[0:1], s3, v100, v[0:1]
	v_mov_b32_e32 v6, s13
	v_add_u32_e32 v108, 0x68, v100
	v_mov_b32_e32 v3, v0
	v_add_co_u32_e64 v0, s[0:1], s12, v102
	v_addc_co_u32_e64 v1, s[0:1], v6, v103, s[0:1]
	v_mad_u64_u32 v[5:6], s[0:1], s3, v7, v[5:6]
	v_mad_u64_u32 v[6:7], s[0:1], s2, v149, 0
	v_lshlrev_b64 v[2:3], 4, v[2:3]
	v_add_u32_e32 v110, 0x9c, v100
	v_add_co_u32_e64 v16, s[0:1], v0, v2
	v_addc_co_u32_e64 v17, s[0:1], v1, v3, s[0:1]
	v_lshlrev_b64 v[2:3], 4, v[4:5]
	v_mov_b32_e32 v4, v7
	v_mad_u64_u32 v[4:5], s[0:1], s3, v149, v[4:5]
	v_add_u32_e32 v5, 0x2a4, v100
	v_mad_u64_u32 v[8:9], s[0:1], s2, v5, 0
	v_add_co_u32_e64 v18, s[0:1], v0, v2
	v_mov_b32_e32 v7, v4
	v_mov_b32_e32 v4, v9
	v_addc_co_u32_e64 v19, s[0:1], v1, v3, s[0:1]
	v_mad_u64_u32 v[4:5], s[0:1], s3, v5, v[4:5]
	v_lshlrev_b64 v[2:3], 4, v[6:7]
	v_mad_u64_u32 v[5:6], s[0:1], s2, v108, 0
	v_add_co_u32_e64 v20, s[0:1], v0, v2
	v_mov_b32_e32 v9, v4
	v_mov_b32_e32 v4, v6
	v_addc_co_u32_e64 v21, s[0:1], v1, v3, s[0:1]
	v_lshlrev_b64 v[2:3], 4, v[8:9]
	v_mad_u64_u32 v[6:7], s[0:1], s3, v108, v[4:5]
	v_add_u32_e32 v9, 0x2d8, v100
	v_mad_u64_u32 v[7:8], s[0:1], s2, v9, 0
	v_add_co_u32_e64 v22, s[0:1], v0, v2
	v_mov_b32_e32 v4, v8
	v_addc_co_u32_e64 v23, s[0:1], v1, v3, s[0:1]
	v_lshlrev_b64 v[2:3], 4, v[5:6]
	v_mad_u64_u32 v[4:5], s[0:1], s3, v9, v[4:5]
	v_mad_u64_u32 v[5:6], s[0:1], s2, v110, 0
	v_add_co_u32_e64 v24, s[0:1], v0, v2
	v_mov_b32_e32 v8, v4
	v_mov_b32_e32 v4, v6
	v_addc_co_u32_e64 v25, s[0:1], v1, v3, s[0:1]
	v_lshlrev_b64 v[2:3], 4, v[7:8]
	v_mad_u64_u32 v[6:7], s[0:1], s3, v110, v[4:5]
	v_add_u32_e32 v9, 0x30c, v100
	v_mad_u64_u32 v[7:8], s[0:1], s2, v9, 0
	v_add_co_u32_e64 v26, s[0:1], v0, v2
	v_mov_b32_e32 v4, v8
	v_addc_co_u32_e64 v27, s[0:1], v1, v3, s[0:1]
	v_lshlrev_b64 v[2:3], 4, v[5:6]
	v_mad_u64_u32 v[4:5], s[0:1], s3, v9, v[4:5]
	v_add_u32_e32 v112, 0xd0, v100
	v_mad_u64_u32 v[5:6], s[0:1], s2, v112, 0
	v_add_co_u32_e64 v32, s[0:1], v0, v2
	v_mov_b32_e32 v8, v4
	v_mov_b32_e32 v4, v6
	v_addc_co_u32_e64 v33, s[0:1], v1, v3, s[0:1]
	v_lshlrev_b64 v[2:3], 4, v[7:8]
	v_mad_u64_u32 v[6:7], s[0:1], s3, v112, v[4:5]
	v_or_b32_e32 v9, 0x340, v100
	v_mad_u64_u32 v[7:8], s[0:1], s2, v9, 0
	v_add_co_u32_e64 v34, s[0:1], v0, v2
	v_mov_b32_e32 v4, v8
	v_addc_co_u32_e64 v35, s[0:1], v1, v3, s[0:1]
	v_lshlrev_b64 v[2:3], 4, v[5:6]
	v_mad_u64_u32 v[4:5], s[0:1], s3, v9, v[4:5]
	v_add_u32_e32 v115, 0x104, v100
	v_mad_u64_u32 v[5:6], s[0:1], s2, v115, 0
	v_add_co_u32_e64 v48, s[0:1], v0, v2
	v_mov_b32_e32 v8, v4
	v_mov_b32_e32 v4, v6
	v_addc_co_u32_e64 v49, s[0:1], v1, v3, s[0:1]
	v_lshlrev_b64 v[2:3], 4, v[7:8]
	v_mad_u64_u32 v[6:7], s[0:1], s3, v115, v[4:5]
	v_add_u32_e32 v9, 0x374, v100
	v_mad_u64_u32 v[7:8], s[0:1], s2, v9, 0
	v_add_co_u32_e64 v50, s[0:1], v0, v2
	v_mov_b32_e32 v4, v8
	v_addc_co_u32_e64 v51, s[0:1], v1, v3, s[0:1]
	v_lshlrev_b64 v[2:3], 4, v[5:6]
	v_mad_u64_u32 v[4:5], s[0:1], s3, v9, v[4:5]
	v_add_u32_e32 v104, 0x138, v100
	v_mad_u64_u32 v[5:6], s[0:1], s2, v104, 0
	v_add_co_u32_e64 v52, s[0:1], v0, v2
	v_mov_b32_e32 v8, v4
	v_mov_b32_e32 v4, v6
	v_addc_co_u32_e64 v53, s[0:1], v1, v3, s[0:1]
	v_lshlrev_b64 v[2:3], 4, v[7:8]
	v_mad_u64_u32 v[6:7], s[0:1], s3, v104, v[4:5]
	v_add_u32_e32 v9, 0x3a8, v100
	;; [unrolled: 15-line block ×7, first 2 shown]
	v_mad_u64_u32 v[7:8], s[0:1], s2, v9, 0
	v_add_co_u32_e64 v126, s[0:1], v0, v2
	v_mov_b32_e32 v4, v8
	v_addc_co_u32_e64 v127, s[0:1], v1, v3, s[0:1]
	v_lshlrev_b64 v[2:3], 4, v[5:6]
	v_mad_u64_u32 v[4:5], s[0:1], s3, v9, v[4:5]
	v_add_co_u32_e64 v128, s[0:1], v0, v2
	v_mov_b32_e32 v8, v4
	v_addc_co_u32_e64 v129, s[0:1], v1, v3, s[0:1]
	v_lshlrev_b64 v[2:3], 4, v[7:8]
	v_add_co_u32_e64 v130, s[0:1], v0, v2
	v_addc_co_u32_e64 v131, s[0:1], v1, v3, s[0:1]
	global_load_dwordx4 v[88:91], v[16:17], off
	global_load_dwordx4 v[92:95], v[18:19], off
	;; [unrolled: 1-line block ×15, first 2 shown]
                                        ; kill: killed $vgpr50 killed $vgpr51
                                        ; kill: killed $vgpr32 killed $vgpr33
                                        ; kill: killed $vgpr34 killed $vgpr35
                                        ; kill: killed $vgpr24 killed $vgpr25
                                        ; kill: killed $vgpr26 killed $vgpr27
                                        ; kill: killed $vgpr60 killed $vgpr61
                                        ; kill: killed $vgpr20 killed $vgpr21
                                        ; kill: killed $vgpr22 killed $vgpr23
                                        ; kill: killed $vgpr56 killed $vgpr57
                                        ; kill: killed $vgpr16 killed $vgpr17
                                        ; kill: killed $vgpr58 killed $vgpr59
                                        ; kill: killed $vgpr18 killed $vgpr19
                                        ; kill: killed $vgpr52 killed $vgpr53
                                        ; kill: killed $vgpr54 killed $vgpr55
                                        ; kill: killed $vgpr48 killed $vgpr49
	global_load_dwordx4 v[64:67], v[96:97], off
	global_load_dwordx4 v[32:35], v[98:99], off
	s_nop 0
	global_load_dwordx4 v[60:63], v[118:119], off
	global_load_dwordx4 v[24:27], v[120:121], off
	;; [unrolled: 1-line block ×7, first 2 shown]
	v_mov_b32_e32 v118, v149
.LBB0_13:
	s_or_b64 exec, exec, s[4:5]
	s_waitcnt vmcnt(22)
	v_add_f64 v[96:97], v[88:89], -v[92:93]
	s_waitcnt vmcnt(20)
	v_add_f64 v[121:122], v[76:77], -v[84:85]
	;; [unrolled: 2-line block ×3, first 2 shown]
	v_add_f64 v[129:130], v[90:91], -v[94:95]
	s_waitcnt vmcnt(16)
	v_add_f64 v[133:134], v[44:45], -v[68:69]
	s_waitcnt vmcnt(14)
	v_add_f64 v[92:93], v[12:13], -v[40:41]
	s_waitcnt vmcnt(12)
	v_add_f64 v[98:99], v[8:9], -v[36:37]
	v_lshl_add_u32 v135, v100, 4, 0
	v_fma_f64 v[94:95], v[88:89], 2.0, -v[96:97]
	v_fma_f64 v[119:120], v[76:77], 2.0, -v[121:122]
	v_lshl_add_u32 v136, v118, 4, 0
	v_fma_f64 v[123:124], v[72:73], 2.0, -v[125:126]
	v_fma_f64 v[131:132], v[44:45], 2.0, -v[133:134]
	;; [unrolled: 1-line block ×4, first 2 shown]
	v_lshl_add_u32 v40, v108, 4, 0
	ds_write_b128 v135, v[94:97]
	ds_write_b128 v136, v[119:122]
	s_waitcnt vmcnt(10)
	v_add_f64 v[94:95], v[4:5], -v[28:29]
	v_fma_f64 v[96:97], v[8:9], 2.0, -v[98:99]
	s_waitcnt vmcnt(8)
	v_add_f64 v[121:122], v[0:1], -v[64:65]
	v_lshl_add_u32 v101, v110, 4, 0
	v_lshl_add_u32 v109, v112, 4, 0
	;; [unrolled: 1-line block ×3, first 2 shown]
	ds_write_b128 v40, v[123:126]
	ds_write_b128 v101, v[131:134]
	;; [unrolled: 1-line block ×3, first 2 shown]
	s_waitcnt vmcnt(6)
	v_add_f64 v[90:91], v[32:33], -v[60:61]
	v_fma_f64 v[92:93], v[4:5], 2.0, -v[94:95]
	s_waitcnt vmcnt(4)
	v_add_f64 v[125:126], v[24:25], -v[56:57]
	ds_write_b128 v111, v[96:99]
	s_waitcnt vmcnt(2)
	v_add_f64 v[96:97], v[20:21], -v[48:49]
	s_waitcnt vmcnt(0)
	v_add_f64 v[133:134], v[16:17], -v[52:53]
	v_fma_f64 v[119:120], v[0:1], 2.0, -v[121:122]
	v_lshl_add_u32 v154, v104, 4, 0
	v_add_f64 v[48:49], v[46:47], -v[70:71]
	v_fma_f64 v[88:89], v[32:33], 2.0, -v[90:91]
	ds_write_b128 v154, v[92:95]
	v_fma_f64 v[123:124], v[24:25], 2.0, -v[125:126]
	v_lshl_add_u32 v156, v105, 4, 0
	v_fma_f64 v[94:95], v[20:21], 2.0, -v[96:97]
	v_fma_f64 v[131:132], v[16:17], 2.0, -v[133:134]
	v_add_f64 v[98:99], v[78:79], -v[86:87]
	v_add_f64 v[16:17], v[14:15], -v[42:43]
	ds_write_b128 v156, v[119:122]
	v_add_f64 v[121:122], v[74:75], -v[82:83]
	v_add_f64 v[12:13], v[10:11], -v[38:39]
	;; [unrolled: 1-line block ×7, first 2 shown]
	v_lshl_add_u32 v155, v106, 4, 0
	v_lshl_add_u32 v113, v107, 4, 0
	;; [unrolled: 1-line block ×3, first 2 shown]
	v_fma_f64 v[46:47], v[46:47], 2.0, -v[48:49]
	v_add_f64 v[20:21], v[18:19], -v[54:55]
	ds_write_b128 v155, v[88:91]
	ds_write_b128 v113, v[123:126]
	;; [unrolled: 1-line block ×3, first 2 shown]
	v_fma_f64 v[96:97], v[78:79], 2.0, -v[98:99]
	v_fma_f64 v[14:15], v[14:15], 2.0, -v[16:17]
	v_fma_f64 v[119:120], v[74:75], 2.0, -v[121:122]
	v_fma_f64 v[10:11], v[10:11], 2.0, -v[12:13]
	v_fma_f64 v[6:7], v[6:7], 2.0, -v[8:9]
	v_fma_f64 v[2:3], v[2:3], 2.0, -v[4:5]
	v_fma_f64 v[30:31], v[34:35], 2.0, -v[32:33]
	v_lshl_add_u32 v150, v100, 3, 0
	v_lshlrev_b32_e32 v167, 3, v106
	v_fma_f64 v[34:35], v[26:27], 2.0, -v[36:37]
	v_lshl_add_u32 v153, v117, 4, 0
	v_lshlrev_b32_e32 v157, 3, v110
	v_lshlrev_b32_e32 v158, 3, v112
	;; [unrolled: 1-line block ×5, first 2 shown]
	v_sub_u32_e32 v77, v155, v167
	v_add_u32_e32 v29, 0x2000, v150
	v_lshlrev_b32_e32 v168, 3, v107
	v_lshlrev_b32_e32 v169, 3, v114
	;; [unrolled: 1-line block ×3, first 2 shown]
	v_fma_f64 v[22:23], v[22:23], 2.0, -v[24:25]
	ds_write_b128 v153, v[131:134]
	s_waitcnt lgkmcnt(0)
	; wave barrier
	s_waitcnt lgkmcnt(0)
	v_add_u32_e32 v162, 0x1000, v150
	v_lshl_add_u32 v151, v118, 3, 0
	v_lshl_add_u32 v152, v108, 3, 0
	v_add_u32_e32 v28, 0x1400, v150
	v_sub_u32_e32 v56, v101, v157
	v_sub_u32_e32 v52, v109, v158
	v_add_u32_e32 v163, 0x1800, v150
	v_sub_u32_e32 v53, v111, v159
	v_sub_u32_e32 v57, v154, v160
	;; [unrolled: 1-line block ×6, first 2 shown]
	ds_read_b64 v[44:45], v150
	ds_read_b64 v[60:61], v151
	;; [unrolled: 1-line block ×12, first 2 shown]
	ds_read2_b64 v[92:95], v162 offset0:112 offset1:164
	ds_read2_b64 v[88:91], v28 offset0:88 offset1:140
	;; [unrolled: 1-line block ×6, first 2 shown]
	s_waitcnt lgkmcnt(0)
	; wave barrier
	s_waitcnt lgkmcnt(0)
	ds_write_b128 v135, v[127:130]
	ds_write_b128 v136, v[96:99]
	;; [unrolled: 1-line block ×3, first 2 shown]
	v_fma_f64 v[18:19], v[18:19], 2.0, -v[20:21]
	ds_write_b128 v101, v[46:49]
	ds_write_b128 v109, v[14:17]
	;; [unrolled: 1-line block ×9, first 2 shown]
	v_and_b32_e32 v30, 1, v100
	v_lshlrev_b32_e32 v0, 4, v30
	s_waitcnt lgkmcnt(0)
	; wave barrier
	s_waitcnt lgkmcnt(0)
	global_load_dwordx4 v[0:3], v0, s[8:9]
	ds_read2_b64 v[40:43], v162 offset0:112 offset1:164
	ds_read_b64 v[123:124], v52
	ds_read_b64 v[125:126], v53
	;; [unrolled: 1-line block ×10, first 2 shown]
	ds_read2_b64 v[52:55], v28 offset0:88 offset1:140
	ds_read_b64 v[145:146], v56
	ds_read_b64 v[147:148], v152
	ds_read2_b64 v[76:79], v163 offset0:64 offset1:116
	ds_read2_b64 v[56:59], v163 offset0:168 offset1:220
	s_movk_i32 s0, 0x7c
	v_lshlrev_b32_e32 v120, 1, v100
	v_and_or_b32 v14, v120, s0, v30
	v_lshl_add_u32 v164, v14, 3, 0
	s_movk_i32 s0, 0xfc
	v_lshlrev_b32_e32 v119, 1, v118
	v_and_or_b32 v16, v119, s0, v30
	v_lshl_add_u32 v165, v16, 3, 0
	s_movk_i32 s0, 0x1fc
	s_movk_i32 s1, 0x2fc
	v_lshlrev_b32_e32 v18, 1, v115
	v_and_or_b32 v24, v18, s1, v30
	v_lshlrev_b32_e32 v31, 1, v117
	s_waitcnt vmcnt(0) lgkmcnt(14)
	v_mul_f64 v[4:5], v[40:41], v[2:3]
	v_mul_f64 v[8:9], v[42:43], v[2:3]
	s_waitcnt lgkmcnt(4)
	v_mul_f64 v[10:11], v[52:53], v[2:3]
	v_mul_f64 v[12:13], v[54:55], v[2:3]
	s_waitcnt lgkmcnt(1)
	v_mul_f64 v[14:15], v[76:77], v[2:3]
	v_fma_f64 v[4:5], v[92:93], v[0:1], -v[4:5]
	v_fma_f64 v[8:9], v[94:95], v[0:1], -v[8:9]
	;; [unrolled: 1-line block ×3, first 2 shown]
	v_add_f64 v[4:5], v[44:45], -v[4:5]
	v_add_f64 v[8:9], v[60:61], -v[8:9]
	;; [unrolled: 1-line block ×3, first 2 shown]
	v_fma_f64 v[6:7], v[44:45], 2.0, -v[4:5]
	ds_read2_b64 v[48:51], v29 offset0:16 offset1:68
	ds_read2_b64 v[44:47], v29 offset0:120 offset1:172
	s_waitcnt lgkmcnt(0)
	; wave barrier
	s_waitcnt lgkmcnt(0)
	ds_write2_b64 v164, v[6:7], v[4:5] offset1:2
	v_fma_f64 v[4:5], v[90:91], v[0:1], -v[12:13]
	v_fma_f64 v[6:7], v[60:61], 2.0, -v[8:9]
	v_fma_f64 v[12:13], v[84:85], v[0:1], -v[14:15]
	v_lshlrev_b32_e32 v14, 1, v108
	v_and_or_b32 v16, v14, s0, v30
	v_lshl_add_u32 v166, v16, 3, 0
	v_mul_f64 v[16:17], v[46:47], v[2:3]
	v_add_f64 v[4:5], v[133:134], -v[4:5]
	ds_write2_b64 v165, v[6:7], v[8:9] offset1:2
	v_fma_f64 v[6:7], v[64:65], 2.0, -v[10:11]
	v_mul_f64 v[8:9], v[78:79], v[2:3]
	v_add_f64 v[12:13], v[171:172], -v[12:13]
	v_fma_f64 v[16:17], v[70:71], v[0:1], -v[16:17]
	v_fma_f64 v[14:15], v[133:134], 2.0, -v[4:5]
	ds_write2_b64 v166, v[6:7], v[10:11] offset1:2
	v_lshlrev_b32_e32 v6, 1, v110
	v_and_or_b32 v10, v6, s0, v30
	v_fma_f64 v[6:7], v[86:87], v[0:1], -v[8:9]
	v_fma_f64 v[8:9], v[171:172], 2.0, -v[12:13]
	v_lshl_add_u32 v171, v10, 3, 0
	ds_write2_b64 v171, v[14:15], v[4:5] offset1:2
	s_movk_i32 s0, 0x3fc
	v_lshlrev_b32_e32 v4, 1, v112
	v_and_or_b32 v4, v4, s0, v30
	v_lshl_add_u32 v172, v4, 3, 0
	v_add_f64 v[4:5], v[173:174], -v[6:7]
	ds_write2_b64 v172, v[8:9], v[12:13] offset1:2
	v_mul_f64 v[8:9], v[56:57], v[2:3]
	v_mul_f64 v[6:7], v[58:59], v[2:3]
	;; [unrolled: 1-line block ×5, first 2 shown]
	v_fma_f64 v[20:21], v[173:174], 2.0, -v[4:5]
	v_lshl_add_u32 v173, v24, 3, 0
	v_fma_f64 v[8:9], v[80:81], v[0:1], -v[8:9]
	v_fma_f64 v[6:7], v[82:83], v[0:1], -v[6:7]
	;; [unrolled: 1-line block ×5, first 2 shown]
	ds_write2_b64 v173, v[20:21], v[4:5] offset1:2
	v_add_f64 v[121:122], v[175:176], -v[8:9]
	v_add_f64 v[26:27], v[177:178], -v[6:7]
	v_add_f64 v[22:23], v[179:180], -v[10:11]
	v_add_f64 v[18:19], v[181:182], -v[12:13]
	v_add_f64 v[14:15], v[183:184], -v[14:15]
	v_add_f64 v[10:11], v[185:186], -v[16:17]
	v_lshlrev_b32_e32 v6, 1, v104
	v_and_or_b32 v6, v6, s1, v30
	v_fma_f64 v[4:5], v[175:176], 2.0, -v[121:122]
	v_fma_f64 v[24:25], v[177:178], 2.0, -v[26:27]
	v_fma_f64 v[20:21], v[179:180], 2.0, -v[22:23]
	v_fma_f64 v[16:17], v[181:182], 2.0, -v[18:19]
	v_fma_f64 v[12:13], v[183:184], 2.0, -v[14:15]
	v_fma_f64 v[8:9], v[185:186], 2.0, -v[10:11]
	v_lshl_add_u32 v174, v6, 3, 0
	v_lshlrev_b32_e32 v6, 1, v107
	ds_write2_b64 v174, v[4:5], v[121:122] offset1:2
	v_lshlrev_b32_e32 v4, 1, v105
	v_lshlrev_b32_e32 v5, 1, v106
	v_and_or_b32 v4, v4, s0, v30
	v_and_or_b32 v5, v5, s0, v30
	s_movk_i32 s0, 0x7fc
	v_and_or_b32 v6, v6, s0, v30
	s_movk_i32 s0, 0x4fc
	v_lshlrev_b32_e32 v7, 1, v114
	v_and_or_b32 v7, v7, s0, v30
	v_and_or_b32 v30, v31, s0, v30
	v_lshl_add_u32 v175, v4, 3, 0
	v_lshl_add_u32 v176, v5, 3, 0
	;; [unrolled: 1-line block ×5, first 2 shown]
	ds_write2_b64 v175, v[24:25], v[26:27] offset1:2
	ds_write2_b64 v176, v[20:21], v[22:23] offset1:2
	;; [unrolled: 1-line block ×5, first 2 shown]
	s_waitcnt lgkmcnt(0)
	; wave barrier
	s_waitcnt lgkmcnt(0)
	v_add_u32_e32 v181, 0x400, v150
	v_add_u32_e32 v182, 0x800, v150
	;; [unrolled: 1-line block ×3, first 2 shown]
	ds_read_b64 v[133:134], v150 offset:9216
	ds_read2_b64 v[4:7], v150 offset1:96
	ds_read2_b64 v[96:99], v181 offset0:64 offset1:160
	ds_read2_b64 v[64:67], v182 offset0:128 offset1:224
	;; [unrolled: 1-line block ×3, first 2 shown]
	ds_read2_b64 v[36:39], v163 offset1:96
	ds_read2_b64 v[32:35], v180 offset0:64 offset1:160
	v_cmp_gt_u32_e64 s[0:1], 44, v100
                                        ; implicit-def: $vgpr30_vgpr31
	s_and_saveexec_b64 s[4:5], s[0:1]
	s_cbranch_execz .LBB0_15
; %bb.14:
	ds_read_b64 v[121:122], v151
	ds_read2_b64 v[24:27], v150 offset0:148 offset1:244
	ds_read2_b64 v[20:23], v182 offset0:84 offset1:180
	;; [unrolled: 1-line block ×6, first 2 shown]
.LBB0_15:
	s_or_b64 exec, exec, s[4:5]
	v_mul_f64 v[92:93], v[92:93], v[2:3]
	v_mul_f64 v[94:95], v[94:95], v[2:3]
	;; [unrolled: 1-line block ×8, first 2 shown]
	v_fma_f64 v[40:41], v[40:41], v[0:1], v[92:93]
	v_fma_f64 v[42:43], v[42:43], v[0:1], v[94:95]
	v_mul_f64 v[72:73], v[72:73], v[2:3]
	v_mul_f64 v[74:75], v[74:75], v[2:3]
	;; [unrolled: 1-line block ×4, first 2 shown]
	v_fma_f64 v[52:53], v[52:53], v[0:1], v[88:89]
	v_fma_f64 v[54:55], v[54:55], v[0:1], v[90:91]
	;; [unrolled: 1-line block ×6, first 2 shown]
	v_add_f64 v[70:71], v[141:142], -v[40:41]
	v_add_f64 v[80:81], v[143:144], -v[42:43]
	v_fma_f64 v[40:41], v[48:49], v[0:1], v[72:73]
	v_fma_f64 v[42:43], v[50:51], v[0:1], v[74:75]
	;; [unrolled: 1-line block ×4, first 2 shown]
	v_add_f64 v[82:83], v[147:148], -v[52:53]
	v_add_f64 v[84:85], v[145:146], -v[54:55]
	;; [unrolled: 1-line block ×6, first 2 shown]
	v_fma_f64 v[2:3], v[141:142], 2.0, -v[70:71]
	v_add_f64 v[54:55], v[131:132], -v[40:41]
	v_add_f64 v[50:51], v[135:136], -v[42:43]
	;; [unrolled: 1-line block ×4, first 2 shown]
	v_fma_f64 v[68:69], v[143:144], 2.0, -v[80:81]
	v_fma_f64 v[72:73], v[147:148], 2.0, -v[82:83]
	;; [unrolled: 1-line block ×11, first 2 shown]
	s_waitcnt lgkmcnt(0)
	; wave barrier
	s_waitcnt lgkmcnt(0)
	ds_write2_b64 v164, v[2:3], v[70:71] offset1:2
	ds_write2_b64 v165, v[68:69], v[80:81] offset1:2
	;; [unrolled: 1-line block ×12, first 2 shown]
	s_waitcnt lgkmcnt(0)
	; wave barrier
	s_waitcnt lgkmcnt(0)
	ds_read2_b64 v[0:3], v150 offset1:96
	ds_read2_b64 v[88:91], v181 offset0:64 offset1:160
	ds_read2_b64 v[84:87], v182 offset0:128 offset1:224
	;; [unrolled: 1-line block ×3, first 2 shown]
	ds_read2_b64 v[76:79], v163 offset1:96
	ds_read2_b64 v[72:75], v180 offset0:64 offset1:160
	ds_read_b64 v[145:146], v150 offset:9216
                                        ; implicit-def: $vgpr70_vgpr71
	s_and_saveexec_b64 s[4:5], s[0:1]
	s_cbranch_execz .LBB0_17
; %bb.16:
	v_add_u32_e32 v40, 0x800, v150
	ds_read_b64 v[92:93], v151
	ds_read2_b64 v[56:59], v150 offset0:148 offset1:244
	ds_read2_b64 v[52:55], v40 offset0:84 offset1:180
	v_add_u32_e32 v40, 0x1000, v150
	ds_read2_b64 v[48:51], v40 offset0:20 offset1:116
	v_add_u32_e32 v40, 0x1400, v150
	;; [unrolled: 2-line block ×3, first 2 shown]
	v_add_u32_e32 v68, 0x2000, v150
	ds_read2_b64 v[40:43], v40 offset0:148 offset1:244
	ds_read2_b64 v[68:71], v68 offset0:84 offset1:180
.LBB0_17:
	s_or_b64 exec, exec, s[4:5]
	v_sub_u32_e32 v166, 0, v157
	v_and_b32_e32 v157, 3, v100
	v_mul_u32_u24_e32 v94, 12, v157
	v_lshlrev_b32_e32 v135, 4, v94
	v_sub_u32_e32 v165, 0, v158
	v_sub_u32_e32 v164, 0, v159
	;; [unrolled: 1-line block ×8, first 2 shown]
	global_load_dwordx4 v[167:170], v135, s[8:9] offset:80
	global_load_dwordx4 v[171:174], v135, s[8:9] offset:64
	;; [unrolled: 1-line block ×12, first 2 shown]
	s_mov_b32 s30, 0x4267c47c
	s_mov_b32 s31, 0xbfddbe06
	s_mov_b32 s4, 0xe00740e9
	s_mov_b32 s5, 0x3fec55a7
	s_mov_b32 s18, 0x42a4c3d2
	s_mov_b32 s19, 0xbfea55e2
	s_mov_b32 s6, 0x1ea71119
	s_mov_b32 s7, 0x3fe22d96
	s_mov_b32 s26, 0x66966769
	s_mov_b32 s16, 0x2ef20147
	s_mov_b32 s22, 0x24c2f84
	s_mov_b32 s28, 0x4bc48dbf
	s_mov_b32 s27, 0xbfefc445
	s_mov_b32 s17, 0xbfedeba7
	s_mov_b32 s23, 0xbfe5384d
	s_mov_b32 s29, 0xbfcea1e5
	s_mov_b32 s10, 0xebaa3ed8
	s_mov_b32 s14, 0xb2365da1
	s_mov_b32 s20, 0xd0032e0c
	s_mov_b32 s24, 0x93053d00
	s_mov_b32 s11, 0x3fbedb7d
	s_mov_b32 s15, 0xbfd6b1d8
	s_mov_b32 s21, 0xbfe7f3cc
	s_mov_b32 s25, 0xbfef11f4
	s_mov_b32 s39, 0x3fe5384d
	s_mov_b32 s38, s22
	s_mov_b32 s35, 0x3fefc445
	s_mov_b32 s34, s26
	s_mov_b32 s37, 0x3fddbe06
	s_mov_b32 s36, s30
	s_mov_b32 s41, 0x3fedeba7
	s_mov_b32 s40, s16
	s_mov_b32 s45, 0x3fcea1e5
	s_mov_b32 s44, s28
	s_mov_b32 s43, 0x3fea55e2
	s_mov_b32 s42, s18
	s_waitcnt lgkmcnt(0)
	; wave barrier
	s_waitcnt vmcnt(8) lgkmcnt(0)
	v_mul_f64 v[94:95], v[2:3], v[181:182]
	v_fma_f64 v[129:130], v[6:7], v[179:180], -v[94:95]
	v_mul_f64 v[6:7], v[6:7], v[181:182]
	v_fma_f64 v[131:132], v[2:3], v[179:180], v[6:7]
	v_mul_f64 v[2:3], v[88:89], v[177:178]
	s_waitcnt vmcnt(6)
	v_mul_f64 v[6:7], v[82:83], v[189:190]
	v_fma_f64 v[127:128], v[96:97], v[175:176], -v[2:3]
	v_mul_f64 v[2:3], v[96:97], v[177:178]
	v_fma_f64 v[123:124], v[88:89], v[175:176], v[2:3]
	v_mul_f64 v[2:3], v[90:91], v[173:174]
	v_fma_f64 v[125:126], v[98:99], v[171:172], -v[2:3]
	v_mul_f64 v[2:3], v[98:99], v[173:174]
	v_fma_f64 v[96:97], v[90:91], v[171:172], v[2:3]
	;; [unrolled: 4-line block ×3, first 2 shown]
	s_waitcnt vmcnt(4)
	v_mul_f64 v[2:3], v[86:87], v[197:198]
	v_fma_f64 v[94:95], v[66:67], v[195:196], -v[2:3]
	v_mul_f64 v[2:3], v[66:67], v[197:198]
	v_fma_f64 v[90:91], v[86:87], v[195:196], v[2:3]
	v_mul_f64 v[2:3], v[80:81], v[193:194]
	v_fma_f64 v[86:87], v[60:61], v[191:192], -v[2:3]
	v_mul_f64 v[2:3], v[60:61], v[193:194]
	v_mul_f64 v[60:61], v[76:77], v[185:186]
	v_fma_f64 v[2:3], v[80:81], v[191:192], v[2:3]
	v_fma_f64 v[80:81], v[62:63], v[187:188], -v[6:7]
	v_mul_f64 v[6:7], v[62:63], v[189:190]
	v_fma_f64 v[6:7], v[82:83], v[187:188], v[6:7]
	v_fma_f64 v[82:83], v[36:37], v[183:184], -v[60:61]
	v_mul_f64 v[36:37], v[36:37], v[185:186]
	v_fma_f64 v[76:77], v[76:77], v[183:184], v[36:37]
	s_waitcnt vmcnt(0)
	v_mul_f64 v[36:37], v[78:79], v[213:214]
	v_fma_f64 v[98:99], v[38:39], v[211:212], -v[36:37]
	v_mul_f64 v[36:37], v[38:39], v[213:214]
	v_fma_f64 v[78:79], v[78:79], v[211:212], v[36:37]
	v_mul_f64 v[36:37], v[72:73], v[209:210]
	v_fma_f64 v[139:140], v[32:33], v[207:208], -v[36:37]
	v_mul_f64 v[32:33], v[32:33], v[209:210]
	v_fma_f64 v[137:138], v[72:73], v[207:208], v[32:33]
	;; [unrolled: 4-line block ×4, first 2 shown]
	v_mul_f64 v[32:33], v[56:57], v[181:182]
	v_add_f64 v[147:148], v[131:132], -v[133:134]
	v_fma_f64 v[72:73], v[24:25], v[179:180], -v[32:33]
	v_mul_f64 v[24:25], v[24:25], v[181:182]
	v_mul_f64 v[145:146], v[147:148], s[22:23]
	v_fma_f64 v[74:75], v[56:57], v[179:180], v[24:25]
	v_mul_f64 v[24:25], v[58:59], v[177:178]
	v_fma_f64 v[62:63], v[26:27], v[175:176], -v[24:25]
	v_mul_f64 v[24:25], v[26:27], v[177:178]
	v_fma_f64 v[64:65], v[58:59], v[175:176], v[24:25]
	v_mul_f64 v[24:25], v[52:53], v[173:174]
	v_fma_f64 v[60:61], v[20:21], v[171:172], -v[24:25]
	;; [unrolled: 4-line block ×3, first 2 shown]
	v_mul_f64 v[20:21], v[22:23], v[169:170]
	v_mul_f64 v[22:23], v[147:148], s[16:17]
	v_mul_f64 v[169:170], v[147:148], s[28:29]
	v_fma_f64 v[52:53], v[54:55], v[167:168], v[20:21]
	v_mul_f64 v[20:21], v[48:49], v[197:198]
	v_add_f64 v[167:168], v[129:130], v[143:144]
	v_fma_f64 v[38:39], v[16:17], v[195:196], -v[20:21]
	v_mul_f64 v[16:17], v[16:17], v[197:198]
	v_fma_f64 v[20:21], v[167:168], s[14:15], -v[22:23]
	v_fma_f64 v[22:23], v[167:168], s[14:15], v[22:23]
	v_fma_f64 v[36:37], v[48:49], v[195:196], v[16:17]
	v_mul_f64 v[16:17], v[50:51], v[193:194]
	v_add_f64 v[20:21], v[4:5], v[20:21]
	v_add_f64 v[22:23], v[4:5], v[22:23]
	v_fma_f64 v[32:33], v[18:19], v[191:192], -v[16:17]
	v_mul_f64 v[16:17], v[18:19], v[193:194]
	v_fma_f64 v[24:25], v[50:51], v[191:192], v[16:17]
	v_mul_f64 v[16:17], v[44:45], v[189:190]
	v_fma_f64 v[34:35], v[12:13], v[187:188], -v[16:17]
	v_mul_f64 v[12:13], v[12:13], v[189:190]
	v_fma_f64 v[26:27], v[44:45], v[187:188], v[12:13]
	v_mul_f64 v[12:13], v[46:47], v[185:186]
	;; [unrolled: 4-line block ×4, first 2 shown]
	v_fma_f64 v[50:51], v[10:11], v[207:208], -v[8:9]
	v_mul_f64 v[8:9], v[10:11], v[209:210]
	v_mul_f64 v[10:11], v[147:148], s[30:31]
	v_fma_f64 v[42:43], v[42:43], v[207:208], v[8:9]
	v_mul_f64 v[8:9], v[68:69], v[205:206]
	v_fma_f64 v[12:13], v[167:168], s[4:5], -v[10:11]
	v_fma_f64 v[10:11], v[167:168], s[4:5], v[10:11]
	v_fma_f64 v[66:67], v[28:29], v[203:204], -v[8:9]
	v_mul_f64 v[8:9], v[28:29], v[205:206]
	v_add_f64 v[10:11], v[4:5], v[10:11]
	v_fma_f64 v[54:55], v[68:69], v[203:204], v[8:9]
	v_mul_f64 v[8:9], v[70:71], v[201:202]
	v_fma_f64 v[68:69], v[30:31], v[199:200], -v[8:9]
	v_mul_f64 v[8:9], v[30:31], v[201:202]
	v_add_f64 v[30:31], v[4:5], v[12:13]
	v_mul_f64 v[12:13], v[147:148], s[18:19]
	v_fma_f64 v[28:29], v[70:71], v[199:200], v[8:9]
	v_fma_f64 v[70:71], v[167:168], s[20:21], -v[145:146]
	v_fma_f64 v[14:15], v[167:168], s[6:7], -v[12:13]
	v_fma_f64 v[12:13], v[167:168], s[6:7], v[12:13]
	v_fma_f64 v[145:146], v[167:168], s[20:21], v[145:146]
	v_add_f64 v[8:9], v[4:5], v[129:130]
	v_add_f64 v[70:71], v[4:5], v[70:71]
	;; [unrolled: 1-line block ×3, first 2 shown]
	v_mul_f64 v[14:15], v[147:148], s[26:27]
	v_add_f64 v[18:19], v[4:5], v[12:13]
	v_fma_f64 v[147:148], v[167:168], s[24:25], -v[169:170]
	v_add_f64 v[145:146], v[4:5], v[145:146]
	v_add_f64 v[8:9], v[8:9], v[127:128]
	v_fma_f64 v[12:13], v[167:168], s[10:11], -v[14:15]
	v_fma_f64 v[14:15], v[167:168], s[10:11], v[14:15]
	v_fma_f64 v[167:168], v[167:168], s[24:25], v[169:170]
	v_add_f64 v[169:170], v[123:124], -v[135:136]
	v_add_f64 v[147:148], v[4:5], v[147:148]
	v_add_f64 v[8:9], v[8:9], v[125:126]
	;; [unrolled: 1-line block ×6, first 2 shown]
	v_mul_f64 v[171:172], v[169:170], s[18:19]
	v_add_f64 v[8:9], v[8:9], v[88:89]
	v_fma_f64 v[173:174], v[167:168], s[6:7], -v[171:172]
	v_fma_f64 v[171:172], v[167:168], s[6:7], v[171:172]
	v_add_f64 v[8:9], v[8:9], v[94:95]
	v_add_f64 v[30:31], v[173:174], v[30:31]
	v_add_f64 v[10:11], v[171:172], v[10:11]
	v_mul_f64 v[171:172], v[169:170], s[16:17]
	v_add_f64 v[8:9], v[8:9], v[86:87]
	v_fma_f64 v[173:174], v[167:168], s[14:15], -v[171:172]
	v_fma_f64 v[171:172], v[167:168], s[14:15], v[171:172]
	v_add_f64 v[8:9], v[8:9], v[80:81]
	v_add_f64 v[16:17], v[173:174], v[16:17]
	v_add_f64 v[18:19], v[171:172], v[18:19]
	v_mul_f64 v[171:172], v[169:170], s[28:29]
	v_add_f64 v[8:9], v[8:9], v[82:83]
	v_fma_f64 v[173:174], v[167:168], s[24:25], -v[171:172]
	v_fma_f64 v[171:172], v[167:168], s[24:25], v[171:172]
	v_add_f64 v[8:9], v[8:9], v[98:99]
	v_add_f64 v[12:13], v[173:174], v[12:13]
	v_add_f64 v[14:15], v[171:172], v[14:15]
	v_mul_f64 v[171:172], v[169:170], s[38:39]
	v_add_f64 v[8:9], v[8:9], v[139:140]
	v_fma_f64 v[173:174], v[167:168], s[20:21], -v[171:172]
	v_fma_f64 v[171:172], v[167:168], s[20:21], v[171:172]
	v_add_f64 v[8:9], v[8:9], v[141:142]
	v_add_f64 v[20:21], v[173:174], v[20:21]
	v_add_f64 v[22:23], v[171:172], v[22:23]
	v_mul_f64 v[171:172], v[169:170], s[34:35]
	v_mul_f64 v[169:170], v[169:170], s[36:37]
	v_add_f64 v[8:9], v[8:9], v[143:144]
	v_fma_f64 v[173:174], v[167:168], s[10:11], -v[171:172]
	v_fma_f64 v[171:172], v[167:168], s[10:11], v[171:172]
	v_add_f64 v[70:71], v[173:174], v[70:71]
	v_add_f64 v[145:146], v[171:172], v[145:146]
	v_fma_f64 v[171:172], v[167:168], s[4:5], -v[169:170]
	v_fma_f64 v[167:168], v[167:168], s[4:5], v[169:170]
	v_add_f64 v[169:170], v[96:97], -v[137:138]
	v_add_f64 v[147:148], v[171:172], v[147:148]
	v_add_f64 v[4:5], v[167:168], v[4:5]
	v_add_f64 v[167:168], v[125:126], v[139:140]
	v_mul_f64 v[171:172], v[169:170], s[26:27]
	v_fma_f64 v[173:174], v[167:168], s[10:11], -v[171:172]
	v_fma_f64 v[171:172], v[167:168], s[10:11], v[171:172]
	v_add_f64 v[30:31], v[173:174], v[30:31]
	v_add_f64 v[10:11], v[171:172], v[10:11]
	v_mul_f64 v[171:172], v[169:170], s[28:29]
	v_fma_f64 v[173:174], v[167:168], s[24:25], -v[171:172]
	v_fma_f64 v[171:172], v[167:168], s[24:25], v[171:172]
	v_add_f64 v[16:17], v[173:174], v[16:17]
	v_add_f64 v[18:19], v[171:172], v[18:19]
	v_mul_f64 v[171:172], v[169:170], s[40:41]
	v_fma_f64 v[173:174], v[167:168], s[14:15], -v[171:172]
	v_fma_f64 v[171:172], v[167:168], s[14:15], v[171:172]
	v_add_f64 v[12:13], v[173:174], v[12:13]
	v_add_f64 v[14:15], v[171:172], v[14:15]
	v_mul_f64 v[171:172], v[169:170], s[36:37]
	v_fma_f64 v[173:174], v[167:168], s[4:5], -v[171:172]
	v_fma_f64 v[171:172], v[167:168], s[4:5], v[171:172]
	v_add_f64 v[20:21], v[173:174], v[20:21]
	v_add_f64 v[22:23], v[171:172], v[22:23]
	v_mul_f64 v[171:172], v[169:170], s[18:19]
	v_mul_f64 v[169:170], v[169:170], s[22:23]
	v_fma_f64 v[173:174], v[167:168], s[6:7], -v[171:172]
	v_fma_f64 v[171:172], v[167:168], s[6:7], v[171:172]
	v_add_f64 v[70:71], v[173:174], v[70:71]
	v_add_f64 v[145:146], v[171:172], v[145:146]
	v_fma_f64 v[171:172], v[167:168], s[20:21], -v[169:170]
	v_fma_f64 v[167:168], v[167:168], s[20:21], v[169:170]
	v_add_f64 v[169:170], v[84:85], -v[78:79]
	v_add_f64 v[147:148], v[171:172], v[147:148]
	v_add_f64 v[4:5], v[167:168], v[4:5]
	v_add_f64 v[167:168], v[88:89], v[98:99]
	v_mul_f64 v[171:172], v[169:170], s[16:17]
	v_fma_f64 v[173:174], v[167:168], s[14:15], -v[171:172]
	v_fma_f64 v[171:172], v[167:168], s[14:15], v[171:172]
	v_add_f64 v[30:31], v[173:174], v[30:31]
	v_add_f64 v[10:11], v[171:172], v[10:11]
	v_mul_f64 v[171:172], v[169:170], s[38:39]
	v_fma_f64 v[173:174], v[167:168], s[20:21], -v[171:172]
	v_fma_f64 v[171:172], v[167:168], s[20:21], v[171:172]
	v_add_f64 v[16:17], v[173:174], v[16:17]
	v_add_f64 v[18:19], v[171:172], v[18:19]
	v_mul_f64 v[171:172], v[169:170], s[36:37]
	v_fma_f64 v[173:174], v[167:168], s[4:5], -v[171:172]
	v_fma_f64 v[171:172], v[167:168], s[4:5], v[171:172]
	v_add_f64 v[12:13], v[173:174], v[12:13]
	v_add_f64 v[14:15], v[171:172], v[14:15]
	v_mul_f64 v[171:172], v[169:170], s[26:27]
	v_fma_f64 v[173:174], v[167:168], s[10:11], -v[171:172]
	v_fma_f64 v[171:172], v[167:168], s[10:11], v[171:172]
	v_add_f64 v[20:21], v[173:174], v[20:21]
	v_add_f64 v[22:23], v[171:172], v[22:23]
	v_mul_f64 v[171:172], v[169:170], s[44:45]
	v_mul_f64 v[169:170], v[169:170], s[42:43]
	v_fma_f64 v[173:174], v[167:168], s[24:25], -v[171:172]
	v_fma_f64 v[171:172], v[167:168], s[24:25], v[171:172]
	v_add_f64 v[70:71], v[173:174], v[70:71]
	v_add_f64 v[145:146], v[171:172], v[145:146]
	v_fma_f64 v[171:172], v[167:168], s[6:7], -v[169:170]
	v_fma_f64 v[167:168], v[167:168], s[6:7], v[169:170]
	v_add_f64 v[169:170], v[90:91], -v[76:77]
	v_add_f64 v[147:148], v[171:172], v[147:148]
	v_add_f64 v[4:5], v[167:168], v[4:5]
	v_add_f64 v[167:168], v[94:95], v[82:83]
	v_mul_f64 v[171:172], v[169:170], s[22:23]
	v_fma_f64 v[173:174], v[167:168], s[20:21], -v[171:172]
	v_fma_f64 v[171:172], v[167:168], s[20:21], v[171:172]
	v_add_f64 v[30:31], v[173:174], v[30:31]
	v_add_f64 v[10:11], v[171:172], v[10:11]
	v_mul_f64 v[171:172], v[169:170], s[34:35]
	v_fma_f64 v[173:174], v[167:168], s[10:11], -v[171:172]
	v_fma_f64 v[171:172], v[167:168], s[10:11], v[171:172]
	v_add_f64 v[16:17], v[173:174], v[16:17]
	v_add_f64 v[18:19], v[171:172], v[18:19]
	v_mul_f64 v[171:172], v[169:170], s[18:19]
	v_fma_f64 v[173:174], v[167:168], s[6:7], -v[171:172]
	v_fma_f64 v[171:172], v[167:168], s[6:7], v[171:172]
	v_add_f64 v[12:13], v[173:174], v[12:13]
	v_add_f64 v[14:15], v[171:172], v[14:15]
	v_mul_f64 v[171:172], v[169:170], s[44:45]
	v_fma_f64 v[173:174], v[167:168], s[24:25], -v[171:172]
	v_fma_f64 v[171:172], v[167:168], s[24:25], v[171:172]
	v_add_f64 v[20:21], v[173:174], v[20:21]
	v_add_f64 v[22:23], v[171:172], v[22:23]
	v_mul_f64 v[171:172], v[169:170], s[36:37]
	v_mul_f64 v[169:170], v[169:170], s[16:17]
	v_fma_f64 v[173:174], v[167:168], s[4:5], -v[171:172]
	v_fma_f64 v[171:172], v[167:168], s[4:5], v[171:172]
	v_add_f64 v[70:71], v[173:174], v[70:71]
	v_add_f64 v[145:146], v[171:172], v[145:146]
	v_fma_f64 v[171:172], v[167:168], s[14:15], -v[169:170]
	v_fma_f64 v[167:168], v[167:168], s[14:15], v[169:170]
	v_add_f64 v[169:170], v[2:3], -v[6:7]
	v_add_f64 v[147:148], v[171:172], v[147:148]
	v_add_f64 v[4:5], v[167:168], v[4:5]
	;; [unrolled: 1-line block ×3, first 2 shown]
	v_mul_f64 v[171:172], v[169:170], s[28:29]
	v_fma_f64 v[173:174], v[167:168], s[24:25], -v[171:172]
	v_fma_f64 v[171:172], v[167:168], s[24:25], v[171:172]
	v_add_f64 v[30:31], v[173:174], v[30:31]
	v_add_f64 v[10:11], v[171:172], v[10:11]
	v_mul_f64 v[171:172], v[169:170], s[36:37]
	v_fma_f64 v[173:174], v[167:168], s[4:5], -v[171:172]
	v_fma_f64 v[171:172], v[167:168], s[4:5], v[171:172]
	v_add_f64 v[16:17], v[173:174], v[16:17]
	v_add_f64 v[18:19], v[171:172], v[18:19]
	;; [unrolled: 5-line block ×6, first 2 shown]
	v_lshrrev_b32_e32 v145, 2, v100
	v_mul_u32_u24_e32 v145, 52, v145
	v_or_b32_e32 v145, v145, v157
	v_lshl_add_u32 v146, v145, 3, 0
	v_lshrrev_b32_e32 v145, 2, v118
	ds_write2_b64 v146, v[8:9], v[30:31] offset1:4
	ds_write2_b64 v146, v[16:17], v[12:13] offset0:8 offset1:12
	ds_write2_b64 v146, v[20:21], v[70:71] offset0:16 offset1:20
	;; [unrolled: 1-line block ×5, first 2 shown]
	ds_write_b64 v146, v[10:11] offset:384
	s_and_saveexec_b64 s[46:47], s[0:1]
	s_cbranch_execz .LBB0_19
; %bb.18:
	v_add_f64 v[4:5], v[74:75], -v[28:29]
	v_add_f64 v[18:19], v[64:65], -v[54:55]
	v_add_f64 v[20:21], v[72:73], v[68:69]
	v_add_f64 v[70:71], v[58:59], -v[42:43]
	v_add_f64 v[167:168], v[62:63], v[66:67]
	;; [unrolled: 2-line block ×3, first 2 shown]
	v_add_f64 v[16:17], v[56:57], v[46:47]
	v_mul_f64 v[22:23], v[4:5], s[28:29]
	v_mul_f64 v[173:174], v[18:19], s[36:37]
	;; [unrolled: 1-line block ×6, first 2 shown]
	v_add_f64 v[14:15], v[36:37], -v[44:45]
	v_mul_f64 v[191:192], v[70:71], s[18:19]
	v_fma_f64 v[175:176], v[20:21], s[24:25], v[22:23]
	v_fma_f64 v[22:23], v[20:21], s[24:25], -v[22:23]
	v_fma_f64 v[187:188], v[167:168], s[4:5], v[173:174]
	v_fma_f64 v[173:174], v[167:168], s[4:5], -v[173:174]
	;; [unrolled: 2-line block ×3, first 2 shown]
	v_fma_f64 v[201:202], v[16:17], s[6:7], v[177:178]
	v_add_f64 v[10:11], v[24:25], -v[26:27]
	v_add_f64 v[175:176], v[121:122], v[175:176]
	v_add_f64 v[22:23], v[121:122], v[22:23]
	;; [unrolled: 1-line block ×3, first 2 shown]
	v_mul_f64 v[171:172], v[14:15], s[16:17]
	v_mul_f64 v[185:186], v[30:31], s[44:45]
	;; [unrolled: 1-line block ×3, first 2 shown]
	v_fma_f64 v[177:178], v[16:17], s[6:7], -v[177:178]
	v_add_f64 v[8:9], v[32:33], v[34:35]
	v_add_f64 v[175:176], v[187:188], v[175:176]
	v_fma_f64 v[187:188], v[20:21], s[20:21], v[189:190]
	v_add_f64 v[22:23], v[173:174], v[22:23]
	v_fma_f64 v[189:190], v[20:21], s[20:21], -v[189:190]
	v_mul_f64 v[169:170], v[10:11], s[34:35]
	v_mul_f64 v[173:174], v[18:19], s[38:39]
	v_fma_f64 v[203:204], v[12:13], s[14:15], v[171:172]
	v_fma_f64 v[171:172], v[12:13], s[14:15], -v[171:172]
	v_add_f64 v[175:176], v[197:198], v[175:176]
	v_fma_f64 v[197:198], v[167:168], s[10:11], v[193:194]
	v_add_f64 v[187:188], v[121:122], v[187:188]
	v_add_f64 v[22:23], v[179:180], v[22:23]
	v_add_f64 v[189:190], v[121:122], v[189:190]
	v_mul_f64 v[183:184], v[14:15], s[36:37]
	v_mul_f64 v[195:196], v[70:71], s[36:37]
	v_fma_f64 v[179:180], v[8:9], s[10:11], v[169:170]
	v_add_f64 v[175:176], v[201:202], v[175:176]
	v_fma_f64 v[201:202], v[147:148], s[6:7], v[191:192]
	v_add_f64 v[187:188], v[197:198], v[187:188]
	v_add_f64 v[22:23], v[177:178], v[22:23]
	v_fma_f64 v[177:178], v[167:168], s[10:11], -v[193:194]
	v_fma_f64 v[193:194], v[20:21], s[14:15], v[199:200]
	v_fma_f64 v[197:198], v[16:17], s[24:25], v[185:186]
	v_fma_f64 v[169:170], v[8:9], s[10:11], -v[169:170]
	v_add_f64 v[175:176], v[203:204], v[175:176]
	v_mul_f64 v[181:182], v[10:11], s[16:17]
	v_add_f64 v[187:188], v[201:202], v[187:188]
	v_add_f64 v[22:23], v[171:172], v[22:23]
	v_fma_f64 v[171:172], v[147:148], s[6:7], -v[191:192]
	v_fma_f64 v[191:192], v[167:168], s[20:21], v[173:174]
	v_add_f64 v[193:194], v[121:122], v[193:194]
	v_add_f64 v[177:178], v[177:178], v[189:190]
	;; [unrolled: 1-line block ×3, first 2 shown]
	v_fma_f64 v[179:180], v[12:13], s[4:5], v[183:184]
	v_add_f64 v[187:188], v[197:198], v[187:188]
	v_fma_f64 v[197:198], v[20:21], s[14:15], -v[199:200]
	v_add_f64 v[22:23], v[169:170], v[22:23]
	v_fma_f64 v[169:170], v[16:17], s[24:25], -v[185:186]
	v_mul_f64 v[185:186], v[30:31], s[26:27]
	v_fma_f64 v[189:190], v[147:148], s[4:5], v[195:196]
	v_add_f64 v[191:192], v[191:192], v[193:194]
	v_add_f64 v[171:172], v[171:172], v[177:178]
	v_fma_f64 v[173:174], v[167:168], s[20:21], -v[173:174]
	v_add_f64 v[197:198], v[121:122], v[197:198]
	v_fma_f64 v[177:178], v[8:9], s[14:15], v[181:182]
	v_add_f64 v[179:180], v[179:180], v[187:188]
	v_fma_f64 v[183:184], v[12:13], s[4:5], -v[183:184]
	v_mul_f64 v[187:188], v[14:15], s[44:45]
	v_fma_f64 v[193:194], v[16:17], s[10:11], v[185:186]
	v_add_f64 v[189:190], v[189:190], v[191:192]
	v_add_f64 v[169:170], v[169:170], v[171:172]
	v_mul_f64 v[191:192], v[4:5], s[26:27]
	v_fma_f64 v[195:196], v[147:148], s[4:5], -v[195:196]
	v_add_f64 v[173:174], v[173:174], v[197:198]
	v_fma_f64 v[171:172], v[8:9], s[14:15], -v[181:182]
	v_mul_f64 v[181:182], v[10:11], s[42:43]
	v_fma_f64 v[199:200], v[12:13], s[24:25], v[187:188]
	v_add_f64 v[189:190], v[193:194], v[189:190]
	v_add_f64 v[169:170], v[183:184], v[169:170]
	;; [unrolled: 1-line block ×3, first 2 shown]
	v_mul_f64 v[179:180], v[18:19], s[28:29]
	v_fma_f64 v[183:184], v[20:21], s[10:11], v[191:192]
	v_fma_f64 v[185:186], v[16:17], s[10:11], -v[185:186]
	v_fma_f64 v[191:192], v[20:21], s[10:11], -v[191:192]
	v_add_f64 v[173:174], v[195:196], v[173:174]
	v_fma_f64 v[193:194], v[8:9], s[6:7], v[181:182]
	v_add_f64 v[189:190], v[199:200], v[189:190]
	v_add_f64 v[169:170], v[171:172], v[169:170]
	v_mul_f64 v[171:172], v[70:71], s[40:41]
	v_fma_f64 v[197:198], v[167:168], s[24:25], v[179:180]
	v_add_f64 v[183:184], v[121:122], v[183:184]
	v_fma_f64 v[179:180], v[167:168], s[24:25], -v[179:180]
	v_add_f64 v[191:192], v[121:122], v[191:192]
	v_add_f64 v[173:174], v[185:186], v[173:174]
	;; [unrolled: 1-line block ×4, first 2 shown]
	v_fma_f64 v[187:188], v[12:13], s[24:25], -v[187:188]
	v_mul_f64 v[193:194], v[30:31], s[36:37]
	v_fma_f64 v[195:196], v[147:148], s[14:15], v[171:172]
	v_add_f64 v[183:184], v[197:198], v[183:184]
	v_fma_f64 v[171:172], v[147:148], s[14:15], -v[171:172]
	v_add_f64 v[179:180], v[179:180], v[191:192]
	v_add_f64 v[185:186], v[185:186], v[62:63]
	v_fma_f64 v[181:182], v[8:9], s[6:7], -v[181:182]
	v_mul_f64 v[197:198], v[14:15], s[18:19]
	v_fma_f64 v[199:200], v[16:17], s[4:5], v[193:194]
	v_add_f64 v[173:174], v[187:188], v[173:174]
	v_add_f64 v[183:184], v[195:196], v[183:184]
	v_mul_f64 v[191:192], v[4:5], s[18:19]
	v_add_f64 v[171:172], v[171:172], v[179:180]
	v_add_f64 v[179:180], v[185:186], v[60:61]
	v_fma_f64 v[193:194], v[16:17], s[4:5], -v[193:194]
	v_fma_f64 v[195:196], v[12:13], s[6:7], v[197:198]
	v_mul_f64 v[4:5], v[4:5], s[30:31]
	v_add_f64 v[173:174], v[181:182], v[173:174]
	v_add_f64 v[183:184], v[199:200], v[183:184]
	v_mul_f64 v[181:182], v[18:19], s[16:17]
	v_fma_f64 v[185:186], v[20:21], s[6:7], v[191:192]
	v_add_f64 v[179:180], v[179:180], v[56:57]
	v_add_f64 v[171:172], v[193:194], v[171:172]
	v_mul_f64 v[193:194], v[70:71], s[28:29]
	v_mul_f64 v[18:19], v[18:19], s[18:19]
	v_fma_f64 v[209:210], v[20:21], s[4:5], -v[4:5]
	v_add_f64 v[183:184], v[195:196], v[183:184]
	v_fma_f64 v[195:196], v[12:13], s[6:7], -v[197:198]
	v_fma_f64 v[197:198], v[167:168], s[14:15], v[181:182]
	v_add_f64 v[185:186], v[121:122], v[185:186]
	v_add_f64 v[179:180], v[179:180], v[38:39]
	v_fma_f64 v[191:192], v[20:21], s[6:7], -v[191:192]
	v_fma_f64 v[4:5], v[20:21], s[4:5], v[4:5]
	v_mul_f64 v[70:71], v[70:71], s[26:27]
	v_fma_f64 v[20:21], v[167:168], s[6:7], -v[18:19]
	v_add_f64 v[171:172], v[195:196], v[171:172]
	v_fma_f64 v[195:196], v[147:148], s[24:25], v[193:194]
	v_add_f64 v[185:186], v[197:198], v[185:186]
	v_add_f64 v[179:180], v[179:180], v[32:33]
	v_fma_f64 v[181:182], v[167:168], s[14:15], -v[181:182]
	v_add_f64 v[191:192], v[121:122], v[191:192]
	v_fma_f64 v[18:19], v[167:168], s[6:7], v[18:19]
	v_add_f64 v[4:5], v[121:122], v[4:5]
	v_mul_f64 v[203:204], v[30:31], s[38:39]
	v_mul_f64 v[30:31], v[30:31], s[16:17]
	v_add_f64 v[185:186], v[195:196], v[185:186]
	v_add_f64 v[195:196], v[121:122], v[209:210]
	;; [unrolled: 1-line block ×3, first 2 shown]
	v_fma_f64 v[121:122], v[147:148], s[10:11], -v[70:71]
	v_fma_f64 v[193:194], v[147:148], s[24:25], -v[193:194]
	v_fma_f64 v[70:71], v[147:148], s[10:11], v[70:71]
	v_add_f64 v[4:5], v[18:19], v[4:5]
	v_mul_f64 v[201:202], v[14:15], s[34:35]
	v_mul_f64 v[14:15], v[14:15], s[22:23]
	v_add_f64 v[20:21], v[20:21], v[195:196]
	v_add_f64 v[167:168], v[179:180], v[48:49]
	;; [unrolled: 1-line block ×3, first 2 shown]
	v_fma_f64 v[18:19], v[16:17], s[14:15], -v[30:31]
	v_fma_f64 v[181:182], v[16:17], s[20:21], -v[203:204]
	v_fma_f64 v[207:208], v[16:17], s[20:21], v[203:204]
	v_fma_f64 v[16:17], v[16:17], s[14:15], v[30:31]
	v_add_f64 v[4:5], v[70:71], v[4:5]
	v_add_f64 v[20:21], v[121:122], v[20:21]
	;; [unrolled: 1-line block ×4, first 2 shown]
	v_mul_f64 v[187:188], v[10:11], s[22:23]
	v_mul_f64 v[197:198], v[10:11], s[36:37]
	;; [unrolled: 1-line block ×3, first 2 shown]
	v_fma_f64 v[30:31], v[12:13], s[20:21], -v[14:15]
	v_fma_f64 v[167:168], v[12:13], s[10:11], -v[201:202]
	v_add_f64 v[18:19], v[18:19], v[20:21]
	v_add_f64 v[20:21], v[121:122], v[50:51]
	v_add_f64 v[70:71], v[181:182], v[147:148]
	v_fma_f64 v[205:206], v[12:13], s[10:11], v[201:202]
	v_add_f64 v[121:122], v[207:208], v[185:186]
	v_fma_f64 v[12:13], v[12:13], s[20:21], v[14:15]
	v_add_f64 v[4:5], v[16:17], v[4:5]
	v_fma_f64 v[14:15], v[8:9], s[24:25], -v[10:11]
	v_add_f64 v[16:17], v[30:31], v[18:19]
	v_add_f64 v[18:19], v[20:21], v[66:67]
	v_fma_f64 v[199:200], v[8:9], s[20:21], v[187:188]
	v_fma_f64 v[187:188], v[8:9], s[20:21], -v[187:188]
	v_fma_f64 v[147:148], v[8:9], s[4:5], -v[197:198]
	v_add_f64 v[20:21], v[167:168], v[70:71]
	v_fma_f64 v[30:31], v[8:9], s[4:5], v[197:198]
	v_add_f64 v[70:71], v[205:206], v[121:122]
	v_fma_f64 v[8:9], v[8:9], s[24:25], v[10:11]
	v_add_f64 v[4:5], v[12:13], v[4:5]
	v_add_f64 v[12:13], v[14:15], v[16:17]
	;; [unrolled: 1-line block ×5, first 2 shown]
	v_mul_lo_u32 v121, v145, 52
	v_add_f64 v[18:19], v[199:200], v[183:184]
	v_add_f64 v[20:21], v[30:31], v[70:71]
	;; [unrolled: 1-line block ×3, first 2 shown]
	v_or_b32_e32 v8, v121, v157
	v_lshl_add_u32 v8, v8, 3, 0
	ds_write2_b64 v8, v[14:15], v[12:13] offset1:4
	ds_write2_b64 v8, v[16:17], v[10:11] offset0:8 offset1:12
	ds_write2_b64 v8, v[173:174], v[169:170] offset0:16 offset1:20
	;; [unrolled: 1-line block ×5, first 2 shown]
	ds_write_b64 v8, v[4:5] offset:384
.LBB0_19:
	s_or_b64 exec, exec, s[46:47]
	v_add_f64 v[4:5], v[0:1], v[131:132]
	v_add_f64 v[8:9], v[129:130], -v[143:144]
	v_add_f64 v[10:11], v[131:132], v[133:134]
	v_add_f64 v[14:15], v[127:128], -v[141:142]
	;; [unrolled: 2-line block ×3, first 2 shown]
	v_add_f64 v[16:17], v[96:97], v[137:138]
	s_waitcnt lgkmcnt(0)
	v_add_f64 v[4:5], v[4:5], v[123:124]
	v_mul_f64 v[20:21], v[8:9], s[30:31]
	v_mul_f64 v[22:23], v[8:9], s[18:19]
	;; [unrolled: 1-line block ×7, first 2 shown]
	v_add_f64 v[4:5], v[4:5], v[96:97]
	v_mul_f64 v[125:126], v[14:15], s[16:17]
	v_fma_f64 v[147:148], v[10:11], s[4:5], v[20:21]
	v_fma_f64 v[20:21], v[10:11], s[4:5], -v[20:21]
	v_fma_f64 v[167:168], v[10:11], s[6:7], v[22:23]
	v_fma_f64 v[22:23], v[10:11], s[6:7], -v[22:23]
	v_mul_f64 v[96:97], v[14:15], s[28:29]
	v_mul_f64 v[127:128], v[14:15], s[38:39]
	v_add_f64 v[4:5], v[4:5], v[84:85]
	v_mul_f64 v[129:130], v[14:15], s[34:35]
	v_mul_f64 v[14:15], v[14:15], s[36:37]
	;; [unrolled: 1-line block ×4, first 2 shown]
	v_fma_f64 v[169:170], v[10:11], s[10:11], v[30:31]
	v_fma_f64 v[30:31], v[10:11], s[10:11], -v[30:31]
	v_fma_f64 v[171:172], v[10:11], s[14:15], v[70:71]
	v_add_f64 v[4:5], v[4:5], v[90:91]
	v_fma_f64 v[70:71], v[10:11], s[14:15], -v[70:71]
	v_fma_f64 v[173:174], v[10:11], s[20:21], v[121:122]
	v_fma_f64 v[121:122], v[10:11], s[20:21], -v[121:122]
	v_fma_f64 v[175:176], v[10:11], s[24:25], v[8:9]
	;; [unrolled: 2-line block ×3, first 2 shown]
	v_fma_f64 v[123:124], v[12:13], s[6:7], -v[123:124]
	v_add_f64 v[4:5], v[4:5], v[2:3]
	v_fma_f64 v[177:178], v[12:13], s[14:15], v[125:126]
	v_fma_f64 v[125:126], v[12:13], s[14:15], -v[125:126]
	v_add_f64 v[147:148], v[0:1], v[147:148]
	v_add_f64 v[20:21], v[0:1], v[20:21]
	;; [unrolled: 1-line block ×4, first 2 shown]
	v_mul_f64 v[141:142], v[18:19], s[40:41]
	v_add_f64 v[4:5], v[4:5], v[6:7]
	v_fma_f64 v[179:180], v[12:13], s[24:25], v[96:97]
	v_fma_f64 v[96:97], v[12:13], s[24:25], -v[96:97]
	v_fma_f64 v[181:182], v[12:13], s[20:21], v[127:128]
	v_fma_f64 v[127:128], v[12:13], s[20:21], -v[127:128]
	;; [unrolled: 2-line block ×3, first 2 shown]
	v_fma_f64 v[185:186], v[12:13], s[4:5], v[14:15]
	v_add_f64 v[4:5], v[4:5], v[76:77]
	v_fma_f64 v[12:13], v[12:13], s[4:5], -v[14:15]
	v_fma_f64 v[14:15], v[16:17], s[10:11], v[131:132]
	v_fma_f64 v[187:188], v[16:17], s[24:25], v[139:140]
	v_fma_f64 v[139:140], v[16:17], s[24:25], -v[139:140]
	v_add_f64 v[169:170], v[0:1], v[169:170]
	v_add_f64 v[30:31], v[0:1], v[30:31]
	;; [unrolled: 1-line block ×14, first 2 shown]
	v_mul_f64 v[143:144], v[18:19], s[36:37]
	v_fma_f64 v[189:190], v[16:17], s[14:15], v[141:142]
	v_add_f64 v[123:124], v[179:180], v[169:170]
	v_add_f64 v[30:31], v[96:97], v[30:31]
	;; [unrolled: 1-line block ×6, first 2 shown]
	v_mul_f64 v[14:15], v[18:19], s[18:19]
	v_add_f64 v[20:21], v[139:140], v[22:23]
	v_add_f64 v[22:23], v[88:89], -v[98:99]
	v_add_f64 v[96:97], v[181:182], v[171:172]
	v_add_f64 v[70:71], v[127:128], v[70:71]
	;; [unrolled: 1-line block ×3, first 2 shown]
	v_fma_f64 v[4:5], v[16:17], s[14:15], -v[141:142]
	v_add_f64 v[125:126], v[183:184], v[173:174]
	v_add_f64 v[88:89], v[189:190], v[123:124]
	v_fma_f64 v[98:99], v[16:17], s[4:5], v[143:144]
	v_fma_f64 v[123:124], v[16:17], s[4:5], -v[143:144]
	v_mul_f64 v[18:19], v[18:19], s[22:23]
	v_add_f64 v[78:79], v[84:85], v[78:79]
	v_mul_f64 v[84:85], v[22:23], s[16:17]
	v_add_f64 v[4:5], v[4:5], v[30:31]
	v_fma_f64 v[30:31], v[16:17], s[6:7], v[14:15]
	v_fma_f64 v[131:132], v[16:17], s[10:11], -v[131:132]
	v_add_f64 v[121:122], v[129:130], v[121:122]
	v_fma_f64 v[14:15], v[16:17], s[6:7], -v[14:15]
	v_add_f64 v[96:97], v[98:99], v[96:97]
	v_add_f64 v[70:71], v[123:124], v[70:71]
	v_mul_f64 v[98:99], v[22:23], s[38:39]
	v_fma_f64 v[123:124], v[16:17], s[20:21], v[18:19]
	v_fma_f64 v[16:17], v[16:17], s[20:21], -v[18:19]
	v_add_f64 v[18:19], v[30:31], v[125:126]
	v_fma_f64 v[30:31], v[78:79], s[14:15], v[84:85]
	v_add_f64 v[10:11], v[131:132], v[10:11]
	v_add_f64 v[14:15], v[14:15], v[121:122]
	v_mul_f64 v[121:122], v[22:23], s[36:37]
	v_fma_f64 v[84:85], v[78:79], s[14:15], -v[84:85]
	v_fma_f64 v[125:126], v[78:79], s[20:21], v[98:99]
	v_add_f64 v[0:1], v[16:17], v[0:1]
	v_fma_f64 v[16:17], v[78:79], s[20:21], -v[98:99]
	v_add_f64 v[8:9], v[30:31], v[8:9]
	v_mul_f64 v[30:31], v[22:23], s[26:27]
	v_add_f64 v[76:77], v[90:91], v[76:77]
	v_fma_f64 v[98:99], v[78:79], s[4:5], v[121:122]
	v_add_f64 v[10:11], v[84:85], v[10:11]
	v_fma_f64 v[84:85], v[78:79], s[4:5], -v[121:122]
	v_mul_f64 v[121:122], v[22:23], s[44:45]
	v_add_f64 v[16:17], v[16:17], v[20:21]
	v_add_f64 v[20:21], v[94:95], -v[82:83]
	v_fma_f64 v[82:83], v[78:79], s[10:11], v[30:31]
	v_fma_f64 v[30:31], v[78:79], s[10:11], -v[30:31]
	v_mul_f64 v[22:23], v[22:23], s[42:43]
	v_add_f64 v[127:128], v[185:186], v[175:176]
	v_add_f64 v[4:5], v[84:85], v[4:5]
	v_fma_f64 v[84:85], v[78:79], s[24:25], v[121:122]
	v_fma_f64 v[94:95], v[78:79], s[24:25], -v[121:122]
	v_mul_f64 v[90:91], v[20:21], s[22:23]
	v_add_f64 v[82:83], v[82:83], v[96:97]
	v_add_f64 v[30:31], v[30:31], v[70:71]
	v_fma_f64 v[70:71], v[78:79], s[6:7], v[22:23]
	v_mul_f64 v[96:97], v[20:21], s[34:35]
	v_fma_f64 v[22:23], v[78:79], s[6:7], -v[22:23]
	v_add_f64 v[18:19], v[84:85], v[18:19]
	v_mul_f64 v[84:85], v[20:21], s[18:19]
	v_fma_f64 v[78:79], v[76:77], s[20:21], v[90:91]
	v_add_f64 v[14:15], v[94:95], v[14:15]
	v_fma_f64 v[90:91], v[76:77], s[20:21], -v[90:91]
	v_add_f64 v[123:124], v[123:124], v[127:128]
	v_fma_f64 v[94:95], v[76:77], s[10:11], v[96:97]
	v_add_f64 v[0:1], v[22:23], v[0:1]
	v_fma_f64 v[22:23], v[76:77], s[10:11], -v[96:97]
	v_mul_f64 v[96:97], v[20:21], s[44:45]
	v_add_f64 v[88:89], v[98:99], v[88:89]
	v_add_f64 v[8:9], v[78:79], v[8:9]
	v_fma_f64 v[78:79], v[76:77], s[6:7], v[84:85]
	v_add_f64 v[10:11], v[90:91], v[10:11]
	v_fma_f64 v[84:85], v[76:77], s[6:7], -v[84:85]
	v_mul_f64 v[90:91], v[20:21], s[36:37]
	v_add_f64 v[16:17], v[22:23], v[16:17]
	v_add_f64 v[22:23], v[86:87], -v[80:81]
	v_fma_f64 v[80:81], v[76:77], s[24:25], v[96:97]
	v_mul_f64 v[20:21], v[20:21], s[16:17]
	v_add_f64 v[2:3], v[2:3], v[6:7]
	v_add_f64 v[12:13], v[125:126], v[12:13]
	;; [unrolled: 1-line block ×5, first 2 shown]
	v_mul_f64 v[6:7], v[22:23], s[28:29]
	v_fma_f64 v[84:85], v[76:77], s[24:25], -v[96:97]
	v_fma_f64 v[86:87], v[76:77], s[4:5], v[90:91]
	v_fma_f64 v[88:89], v[76:77], s[4:5], -v[90:91]
	v_add_f64 v[80:81], v[80:81], v[82:83]
	v_fma_f64 v[82:83], v[76:77], s[14:15], v[20:21]
	v_mul_f64 v[90:91], v[22:23], s[36:37]
	v_fma_f64 v[20:21], v[76:77], s[14:15], -v[20:21]
	v_fma_f64 v[76:77], v[2:3], s[24:25], v[6:7]
	v_fma_f64 v[6:7], v[2:3], s[24:25], -v[6:7]
	v_add_f64 v[12:13], v[94:95], v[12:13]
	v_add_f64 v[30:31], v[84:85], v[30:31]
	v_mul_f64 v[84:85], v[22:23], s[22:23]
	v_add_f64 v[70:71], v[82:83], v[70:71]
	v_fma_f64 v[82:83], v[2:3], s[4:5], v[90:91]
	v_add_f64 v[0:1], v[20:21], v[0:1]
	v_fma_f64 v[20:21], v[2:3], s[4:5], -v[90:91]
	v_add_f64 v[135:136], v[76:77], v[8:9]
	v_mul_f64 v[8:9], v[22:23], s[42:43]
	v_add_f64 v[137:138], v[6:7], v[10:11]
	v_mul_f64 v[6:7], v[22:23], s[16:17]
	v_mul_f64 v[10:11], v[22:23], s[34:35]
	v_add_f64 v[18:19], v[86:87], v[18:19]
	v_add_f64 v[14:15], v[88:89], v[14:15]
	;; [unrolled: 1-line block ×4, first 2 shown]
	v_fma_f64 v[12:13], v[2:3], s[20:21], v[84:85]
	v_fma_f64 v[16:17], v[2:3], s[20:21], -v[84:85]
	v_fma_f64 v[20:21], v[2:3], s[6:7], v[8:9]
	v_fma_f64 v[8:9], v[2:3], s[6:7], -v[8:9]
	;; [unrolled: 2-line block ×4, first 2 shown]
	v_add_u32_e32 v129, 0x1000, v150
	v_add_u32_e32 v130, 0x1400, v150
	;; [unrolled: 1-line block ×6, first 2 shown]
	v_add_f64 v[143:144], v[12:13], v[78:79]
	v_add_f64 v[147:148], v[16:17], v[4:5]
	;; [unrolled: 1-line block ×8, first 2 shown]
	; wave barrier
	ds_read2_b64 v[16:19], v129 offset0:112 offset1:164
	ds_read2_b64 v[20:23], v130 offset0:88 offset1:140
	v_add_u32_e32 v98, v101, v166
	ds_read_b64 v[96:97], v150
	ds_read_b64 v[94:95], v151
	;; [unrolled: 1-line block ×4, first 2 shown]
	ds_read2_b64 v[8:11], v131 offset0:64 offset1:116
	v_add_u32_e32 v122, v111, v164
	v_add_u32_e32 v123, v154, v163
	ds_read2_b64 v[12:15], v131 offset0:168 offset1:220
	v_add_u32_e32 v124, v156, v162
	ds_read_b64 v[86:87], v99
	ds_read_b64 v[84:85], v122
	;; [unrolled: 1-line block ×4, first 2 shown]
	ds_read2_b64 v[0:3], v132 offset0:16 offset1:68
	v_add_u32_e32 v126, v113, v160
	v_add_u32_e32 v127, v116, v159
	ds_read2_b64 v[4:7], v132 offset0:120 offset1:172
	v_add_u32_e32 v128, v153, v158
	ds_read_b64 v[78:79], v125
	ds_read_b64 v[76:77], v126
	;; [unrolled: 1-line block ×4, first 2 shown]
	s_movk_i32 s33, 0x1000
	s_waitcnt lgkmcnt(0)
	; wave barrier
	s_waitcnt lgkmcnt(0)
	ds_write2_b64 v146, v[133:134], v[135:136] offset1:4
	ds_write2_b64 v146, v[139:140], v[143:144] offset0:8 offset1:12
	ds_write2_b64 v146, v[167:168], v[171:172] offset0:16 offset1:20
	;; [unrolled: 1-line block ×5, first 2 shown]
	ds_write_b64 v146, v[137:138] offset:384
	s_and_saveexec_b64 s[4:5], s[0:1]
	s_cbranch_execz .LBB0_21
; %bb.20:
	v_add_f64 v[133:134], v[92:93], v[74:75]
	v_add_f64 v[68:69], v[72:73], -v[68:69]
	v_add_f64 v[62:63], v[62:63], -v[66:67]
	s_mov_b32 s24, 0x42a4c3d2
	s_mov_b32 s25, 0xbfea55e2
	v_add_f64 v[74:75], v[74:75], v[28:29]
	s_mov_b32 s0, 0x1ea71119
	s_mov_b32 s34, 0x66966769
	v_add_f64 v[72:73], v[133:134], v[64:65]
	v_mul_f64 v[133:134], v[68:69], s[24:25]
	s_mov_b32 s18, 0x2ef20147
	s_mov_b32 s15, 0xbfddbe06
	s_mov_b32 s14, 0x4267c47c
	s_mov_b32 s1, 0x3fe22d96
	s_mov_b32 s35, 0xbfefc445
	s_mov_b32 s19, 0xbfedeba7
	v_add_f64 v[72:73], v[72:73], v[58:59]
	v_add_f64 v[64:65], v[64:65], v[54:55]
	v_mul_f64 v[135:136], v[68:69], s[34:35]
	v_mul_f64 v[137:138], v[68:69], s[18:19]
	;; [unrolled: 1-line block ×4, first 2 shown]
	v_fma_f64 v[160:161], v[74:75], s[0:1], v[133:134]
	v_fma_f64 v[133:134], v[74:75], s[0:1], -v[133:134]
	v_add_f64 v[72:73], v[72:73], v[52:53]
	s_mov_b32 s6, 0xe00740e9
	s_mov_b32 s16, 0xb2365da1
	;; [unrolled: 1-line block ×7, first 2 shown]
	v_add_f64 v[66:67], v[72:73], v[36:37]
	v_mul_f64 v[72:73], v[68:69], s[14:15]
	s_mov_b32 s30, s34
	v_mul_f64 v[68:69], v[68:69], s[28:29]
	v_mul_f64 v[141:142], v[62:63], s[24:25]
	;; [unrolled: 1-line block ×5, first 2 shown]
	v_add_f64 v[66:67], v[66:67], v[24:25]
	v_fma_f64 v[158:159], v[74:75], s[6:7], v[72:73]
	v_fma_f64 v[72:73], v[74:75], s[6:7], -v[72:73]
	v_fma_f64 v[162:163], v[74:75], s[10:11], v[135:136]
	v_fma_f64 v[135:136], v[74:75], s[10:11], -v[135:136]
	;; [unrolled: 2-line block ×3, first 2 shown]
	v_fma_f64 v[166:167], v[74:75], s[20:21], v[139:140]
	v_add_f64 v[66:67], v[66:67], v[26:27]
	v_fma_f64 v[170:171], v[64:65], s[16:17], v[143:144]
	v_fma_f64 v[143:144], v[64:65], s[16:17], -v[143:144]
	v_add_f64 v[133:134], v[92:93], v[133:134]
	v_add_f64 v[50:51], v[60:61], -v[50:51]
	s_mov_b32 s26, 0x93053d00
	s_mov_b32 s27, 0xbfef11f4
	;; [unrolled: 1-line block ×3, first 2 shown]
	v_add_f64 v[66:67], v[66:67], v[44:45]
	v_fma_f64 v[139:140], v[74:75], s[20:21], -v[139:140]
	v_fma_f64 v[168:169], v[74:75], s[26:27], v[68:69]
	v_fma_f64 v[68:69], v[74:75], s[26:27], -v[68:69]
	v_fma_f64 v[74:75], v[64:65], s[0:1], v[141:142]
	;; [unrolled: 2-line block ×3, first 2 shown]
	v_add_f64 v[72:73], v[92:93], v[72:73]
	v_add_f64 v[66:67], v[66:67], v[40:41]
	;; [unrolled: 1-line block ×7, first 2 shown]
	v_fma_f64 v[143:144], v[64:65], s[20:21], v[153:154]
	v_mul_f64 v[60:61], v[62:63], s[14:15]
	v_add_f64 v[66:67], v[66:67], v[42:43]
	v_add_f64 v[42:43], v[58:59], v[42:43]
	v_mul_f64 v[58:59], v[50:51], s[34:35]
	s_mov_b32 s39, 0x3fedeba7
	s_mov_b32 s38, s18
	v_add_f64 v[158:159], v[92:93], v[158:159]
	v_add_f64 v[139:140], v[92:93], v[139:140]
	v_add_f64 v[68:69], v[92:93], v[68:69]
	v_add_f64 v[54:55], v[66:67], v[54:55]
	v_add_f64 v[72:73], v[141:142], v[72:73]
	v_add_f64 v[62:63], v[143:144], v[164:165]
	v_fma_f64 v[143:144], v[64:65], s[6:7], v[60:61]
	v_fma_f64 v[60:61], v[64:65], s[6:7], -v[60:61]
	v_add_f64 v[162:163], v[92:93], v[162:163]
	v_add_f64 v[66:67], v[92:93], v[168:169]
	;; [unrolled: 1-line block ×4, first 2 shown]
	v_fma_f64 v[54:55], v[64:65], s[26:27], -v[146:147]
	v_fma_f64 v[146:147], v[64:65], s[20:21], -v[153:154]
	v_fma_f64 v[153:154], v[64:65], s[10:11], v[155:156]
	v_fma_f64 v[155:156], v[64:65], s[10:11], -v[155:156]
	v_mul_f64 v[64:65], v[50:51], s[28:29]
	v_add_f64 v[60:61], v[60:61], v[68:69]
	v_mul_f64 v[68:69], v[50:51], s[14:15]
	v_add_f64 v[160:161], v[92:93], v[160:161]
	v_add_f64 v[54:55], v[54:55], v[135:136]
	;; [unrolled: 1-line block ×4, first 2 shown]
	v_mul_f64 v[146:147], v[50:51], s[38:39]
	v_fma_f64 v[153:154], v[42:43], s[10:11], v[58:59]
	v_fma_f64 v[58:59], v[42:43], s[10:11], -v[58:59]
	v_add_f64 v[139:140], v[155:156], v[139:140]
	v_add_f64 v[141:142], v[172:173], v[162:163]
	;; [unrolled: 1-line block ×3, first 2 shown]
	v_fma_f64 v[143:144], v[42:43], s[26:27], v[64:65]
	v_fma_f64 v[64:65], v[42:43], s[26:27], -v[64:65]
	v_fma_f64 v[155:156], v[42:43], s[16:17], v[146:147]
	v_add_f64 v[74:75], v[153:154], v[74:75]
	v_add_f64 v[58:59], v[58:59], v[72:73]
	v_fma_f64 v[72:73], v[42:43], s[16:17], -v[146:147]
	v_mul_f64 v[146:147], v[50:51], s[24:25]
	v_fma_f64 v[153:154], v[42:43], s[6:7], v[68:69]
	v_add_f64 v[46:47], v[56:57], -v[46:47]
	v_fma_f64 v[56:57], v[42:43], s[6:7], -v[68:69]
	v_mul_f64 v[50:51], v[50:51], s[22:23]
	v_add_f64 v[92:93], v[170:171], v[160:161]
	v_add_f64 v[64:65], v[64:65], v[133:134]
	;; [unrolled: 1-line block ×3, first 2 shown]
	v_fma_f64 v[68:69], v[42:43], s[0:1], v[146:147]
	v_add_f64 v[54:55], v[72:73], v[54:55]
	v_fma_f64 v[72:73], v[42:43], s[0:1], -v[146:147]
	v_add_f64 v[40:41], v[52:53], v[40:41]
	v_mul_f64 v[52:53], v[46:47], s[18:19]
	v_add_f64 v[56:57], v[56:57], v[135:136]
	v_mul_f64 v[135:136], v[46:47], s[36:37]
	v_fma_f64 v[141:142], v[42:43], s[20:21], v[50:51]
	v_add_f64 v[68:69], v[68:69], v[137:138]
	v_mul_f64 v[137:138], v[46:47], s[14:15]
	v_add_f64 v[92:93], v[143:144], v[92:93]
	v_add_f64 v[72:73], v[72:73], v[139:140]
	v_fma_f64 v[42:43], v[42:43], s[20:21], -v[50:51]
	v_fma_f64 v[50:51], v[40:41], s[16:17], v[52:53]
	v_fma_f64 v[52:53], v[40:41], s[16:17], -v[52:53]
	v_fma_f64 v[139:140], v[40:41], s[20:21], v[135:136]
	;; [unrolled: 2-line block ×3, first 2 shown]
	v_add_f64 v[66:67], v[141:142], v[66:67]
	v_mul_f64 v[141:142], v[46:47], s[34:35]
	s_mov_b32 s35, 0x3fcea1e5
	s_mov_b32 s34, s28
	v_add_f64 v[62:63], v[153:154], v[62:63]
	v_add_f64 v[42:43], v[42:43], v[60:61]
	;; [unrolled: 1-line block ×7, first 2 shown]
	v_fma_f64 v[74:75], v[40:41], s[6:7], -v[137:138]
	v_fma_f64 v[92:93], v[40:41], s[10:11], v[141:142]
	v_mul_f64 v[133:134], v[46:47], s[34:35]
	v_add_f64 v[38:39], v[38:39], -v[48:49]
	s_mov_b32 s37, 0x3fea55e2
	s_mov_b32 s36, s24
	v_mul_f64 v[46:47], v[46:47], s[36:37]
	v_add_f64 v[36:37], v[36:37], v[44:45]
	v_add_f64 v[48:49], v[74:75], v[54:55]
	;; [unrolled: 1-line block ×3, first 2 shown]
	v_fma_f64 v[62:63], v[40:41], s[26:27], v[133:134]
	v_mul_f64 v[44:45], v[38:39], s[22:23]
	v_fma_f64 v[135:136], v[40:41], s[10:11], -v[141:142]
	v_fma_f64 v[74:75], v[40:41], s[26:27], -v[133:134]
	v_fma_f64 v[92:93], v[40:41], s[0:1], v[46:47]
	v_fma_f64 v[40:41], v[40:41], s[0:1], -v[46:47]
	v_mul_f64 v[133:134], v[38:39], s[30:31]
	v_add_f64 v[32:33], v[32:33], -v[34:35]
	v_add_f64 v[46:47], v[62:63], v[68:69]
	v_mul_f64 v[62:63], v[38:39], s[24:25]
	v_fma_f64 v[68:69], v[36:37], s[20:21], v[44:45]
	v_fma_f64 v[44:45], v[36:37], s[20:21], -v[44:45]
	v_add_f64 v[66:67], v[92:93], v[66:67]
	v_add_f64 v[40:41], v[40:41], v[42:43]
	v_fma_f64 v[42:43], v[36:37], s[10:11], -v[133:134]
	v_mul_f64 v[34:35], v[38:39], s[18:19]
	v_add_f64 v[56:57], v[135:136], v[56:57]
	v_fma_f64 v[92:93], v[36:37], s[0:1], v[62:63]
	v_add_f64 v[50:51], v[68:69], v[50:51]
	v_add_f64 v[44:45], v[44:45], v[52:53]
	v_fma_f64 v[52:53], v[36:37], s[0:1], -v[62:63]
	v_mul_f64 v[62:63], v[38:39], s[34:35]
	v_mul_f64 v[68:69], v[38:39], s[14:15]
	v_add_f64 v[24:25], v[24:25], v[26:27]
	v_mul_f64 v[26:27], v[32:33], s[28:29]
	v_add_f64 v[42:43], v[42:43], v[60:61]
	v_add_f64 v[60:61], v[92:93], v[64:65]
	;; [unrolled: 1-line block ×4, first 2 shown]
	v_fma_f64 v[48:49], v[36:37], s[26:27], v[62:63]
	v_fma_f64 v[52:53], v[36:37], s[26:27], -v[62:63]
	v_fma_f64 v[62:63], v[36:37], s[6:7], v[68:69]
	v_fma_f64 v[64:65], v[36:37], s[6:7], -v[68:69]
	;; [unrolled: 2-line block ×3, first 2 shown]
	v_fma_f64 v[74:75], v[36:37], s[10:11], v[133:134]
	v_add_f64 v[36:37], v[48:49], v[54:55]
	v_add_f64 v[48:49], v[52:53], v[56:57]
	v_mul_f64 v[52:53], v[32:33], s[14:15]
	v_fma_f64 v[56:57], v[24:25], s[26:27], v[26:27]
	v_add_f64 v[46:47], v[62:63], v[46:47]
	v_add_f64 v[34:35], v[34:35], v[40:41]
	v_mul_f64 v[40:41], v[32:33], s[22:23]
	v_add_f64 v[58:59], v[74:75], v[58:59]
	v_add_f64 v[54:55], v[64:65], v[72:73]
	;; [unrolled: 1-line block ×3, first 2 shown]
	v_fma_f64 v[26:27], v[24:25], s[26:27], -v[26:27]
	v_fma_f64 v[64:65], v[24:25], s[6:7], v[52:53]
	v_fma_f64 v[52:53], v[24:25], s[6:7], -v[52:53]
	v_mul_f64 v[66:67], v[32:33], s[36:37]
	v_add_f64 v[50:51], v[56:57], v[50:51]
	v_mul_f64 v[56:57], v[32:33], s[18:19]
	v_mul_f64 v[32:33], v[32:33], s[30:31]
	v_fma_f64 v[68:69], v[24:25], s[20:21], v[40:41]
	v_add_f64 v[26:27], v[26:27], v[44:45]
	v_add_f64 v[44:45], v[64:65], v[58:59]
	;; [unrolled: 1-line block ×3, first 2 shown]
	v_fma_f64 v[52:53], v[24:25], s[0:1], v[66:67]
	v_fma_f64 v[58:59], v[24:25], s[0:1], -v[66:67]
	v_fma_f64 v[64:65], v[24:25], s[16:17], v[56:57]
	v_fma_f64 v[66:67], v[24:25], s[10:11], v[32:33]
	v_fma_f64 v[32:33], v[24:25], s[10:11], -v[32:33]
	v_fma_f64 v[56:57], v[24:25], s[16:17], -v[56:57]
	;; [unrolled: 1-line block ×3, first 2 shown]
	v_add_f64 v[60:61], v[68:69], v[60:61]
	v_add_f64 v[36:37], v[52:53], v[36:37]
	v_mul_lo_u32 v52, v145, 52
	v_add_f64 v[46:47], v[64:65], v[46:47]
	v_add_f64 v[40:41], v[58:59], v[48:49]
	;; [unrolled: 1-line block ×6, first 2 shown]
	v_or_b32_e32 v38, v52, v157
	v_lshl_add_u32 v38, v38, 3, 0
	ds_write2_b64 v38, v[28:29], v[50:51] offset1:4
	ds_write2_b64 v38, v[44:45], v[60:61] offset0:8 offset1:12
	ds_write2_b64 v38, v[36:37], v[46:47] offset0:16 offset1:20
	;; [unrolled: 1-line block ×5, first 2 shown]
	ds_write_b64 v38, v[26:27] offset:384
.LBB0_21:
	s_or_b64 exec, exec, s[4:5]
	v_mov_b32_e32 v101, 0
	v_lshlrev_b64 v[24:25], 4, v[100:101]
	v_mov_b32_e32 v26, s9
	v_add_co_u32_e64 v24, s[0:1], s8, v24
	v_addc_co_u32_e64 v25, s[0:1], v26, v25, s[0:1]
	s_movk_i32 s0, 0x4f
	v_mul_lo_u16_sdwa v27, v108, s0 dst_sel:DWORD dst_unused:UNUSED_PAD src0_sel:BYTE_0 src1_sel:DWORD
	v_lshrrev_b16_e32 v27, 12, v27
	v_mul_lo_u16_sdwa v28, v110, s0 dst_sel:DWORD dst_unused:UNUSED_PAD src0_sel:BYTE_0 src1_sel:DWORD
	v_mul_lo_u16_e32 v27, 52, v27
	v_lshrrev_b16_e32 v28, 12, v28
	v_sub_u16_e32 v27, v108, v27
	v_mul_lo_u16_e32 v28, 52, v28
	v_and_b32_e32 v109, 0xff, v27
	v_sub_u16_e32 v28, v110, v28
	s_movk_i32 s0, 0x4ec5
	v_lshlrev_b32_e32 v27, 4, v109
	v_and_b32_e32 v111, 0xff, v28
	v_mul_u32_u24_sdwa v113, v112, s0 dst_sel:DWORD dst_unused:UNUSED_PAD src0_sel:WORD_0 src1_sel:DWORD
	s_waitcnt lgkmcnt(0)
	; wave barrier
	s_waitcnt lgkmcnt(0)
	global_load_dwordx4 v[32:35], v[24:25], off offset:800
	v_lshlrev_b32_e32 v28, 4, v111
	global_load_dwordx4 v[36:39], v27, s[8:9] offset:800
	global_load_dwordx4 v[40:43], v28, s[8:9] offset:800
	v_lshrrev_b32_e32 v27, 20, v113
	v_mul_u32_u24_sdwa v193, v115, s0 dst_sel:DWORD dst_unused:UNUSED_PAD src0_sel:WORD_0 src1_sel:DWORD
	v_mul_lo_u16_e32 v27, 52, v27
	v_lshrrev_b32_e32 v28, 20, v193
	v_sub_u16_e32 v116, v112, v27
	v_mul_lo_u16_e32 v28, 52, v28
	v_lshlrev_b32_e32 v27, 4, v116
	v_sub_u16_e32 v121, v115, v28
	v_mul_u32_u24_sdwa v194, v104, s0 dst_sel:DWORD dst_unused:UNUSED_PAD src0_sel:WORD_0 src1_sel:DWORD
	v_lshlrev_b32_e32 v28, 4, v121
	global_load_dwordx4 v[44:47], v27, s[8:9] offset:800
	global_load_dwordx4 v[48:51], v28, s[8:9] offset:800
	v_lshrrev_b32_e32 v27, 20, v194
	v_mul_u32_u24_sdwa v196, v105, s0 dst_sel:DWORD dst_unused:UNUSED_PAD src0_sel:WORD_0 src1_sel:DWORD
	v_mul_lo_u16_e32 v27, 52, v27
	v_lshrrev_b32_e32 v28, 20, v196
	v_sub_u16_e32 v195, v104, v27
	v_mul_lo_u16_e32 v28, 52, v28
	v_lshlrev_b32_e32 v27, 4, v195
	v_sub_u16_e32 v197, v105, v28
	v_lshlrev_b32_e32 v28, 4, v197
	global_load_dwordx4 v[52:55], v27, s[8:9] offset:800
	global_load_dwordx4 v[56:59], v28, s[8:9] offset:800
	v_mul_u32_u24_sdwa v27, v106, s0 dst_sel:DWORD dst_unused:UNUSED_PAD src0_sel:WORD_0 src1_sel:DWORD
	v_lshrrev_b32_e32 v27, 20, v27
	v_mul_u32_u24_sdwa v28, v107, s0 dst_sel:DWORD dst_unused:UNUSED_PAD src0_sel:WORD_0 src1_sel:DWORD
	v_mul_lo_u16_e32 v27, 52, v27
	v_lshrrev_b32_e32 v28, 20, v28
	v_sub_u16_e32 v198, v106, v27
	v_mul_lo_u16_e32 v28, 52, v28
	v_lshlrev_b32_e32 v27, 4, v198
	v_sub_u16_e32 v199, v107, v28
	v_lshlrev_b32_e32 v28, 4, v199
	global_load_dwordx4 v[60:63], v27, s[8:9] offset:800
	global_load_dwordx4 v[64:67], v28, s[8:9] offset:800
	v_mul_u32_u24_sdwa v27, v114, s0 dst_sel:DWORD dst_unused:UNUSED_PAD src0_sel:WORD_0 src1_sel:DWORD
	v_lshrrev_b32_e32 v27, 20, v27
	v_mul_lo_u16_e32 v27, 52, v27
	v_sub_u16_e32 v200, v114, v27
	v_lshlrev_b32_e32 v27, 4, v200
	v_mul_u32_u24_sdwa v28, v117, s0 dst_sel:DWORD dst_unused:UNUSED_PAD src0_sel:WORD_0 src1_sel:DWORD
	v_lshrrev_b32_e32 v28, 20, v28
	global_load_dwordx4 v[72:75], v27, s[8:9] offset:800
	v_mul_lo_u16_e32 v28, 52, v28
	v_sub_u16_e32 v201, v117, v28
	v_lshlrev_b32_e32 v27, 4, v201
	global_load_dwordx4 v[133:136], v27, s[8:9] offset:800
	ds_read2_b64 v[137:140], v129 offset0:112 offset1:164
	ds_read_b64 v[27:28], v150
	ds_read_b64 v[68:69], v151
	;; [unrolled: 1-line block ×3, first 2 shown]
	ds_read2_b64 v[141:144], v130 offset0:88 offset1:140
	ds_read2_b64 v[145:148], v131 offset0:64 offset1:116
	ds_read_b64 v[165:166], v98
	ds_read_b64 v[167:168], v99
	;; [unrolled: 1-line block ×4, first 2 shown]
	ds_read2_b64 v[153:156], v131 offset0:168 offset1:220
	ds_read2_b64 v[157:160], v132 offset0:16 offset1:68
	ds_read_b64 v[173:174], v124
	ds_read_b64 v[175:176], v125
	;; [unrolled: 1-line block ×4, first 2 shown]
	ds_read2_b64 v[161:164], v132 offset0:120 offset1:172
	ds_read_b64 v[181:182], v128
	s_waitcnt lgkmcnt(0)
	; wave barrier
	s_waitcnt lgkmcnt(0)
	s_mov_b32 s5, 0xbfebb67a
	s_waitcnt vmcnt(10)
	v_mul_f64 v[183:184], v[137:138], v[34:35]
	v_mul_f64 v[185:186], v[16:17], v[34:35]
	;; [unrolled: 1-line block ×4, first 2 shown]
	s_waitcnt vmcnt(9)
	v_mul_f64 v[189:190], v[141:142], v[38:39]
	v_mul_f64 v[38:39], v[20:21], v[38:39]
	s_waitcnt vmcnt(8)
	v_mul_f64 v[191:192], v[143:144], v[42:43]
	v_mul_f64 v[42:43], v[22:23], v[42:43]
	v_fma_f64 v[16:17], v[16:17], v[32:33], -v[183:184]
	v_fma_f64 v[137:138], v[137:138], v[32:33], v[185:186]
	v_fma_f64 v[18:19], v[18:19], v[32:33], -v[187:188]
	v_fma_f64 v[32:33], v[139:140], v[32:33], v[34:35]
	;; [unrolled: 2-line block ×4, first 2 shown]
	s_waitcnt vmcnt(7)
	v_mul_f64 v[38:39], v[145:146], v[46:47]
	v_mul_f64 v[40:41], v[8:9], v[46:47]
	s_waitcnt vmcnt(6)
	v_mul_f64 v[42:43], v[147:148], v[50:51]
	v_mul_f64 v[46:47], v[10:11], v[50:51]
	v_add_f64 v[16:17], v[96:97], -v[16:17]
	v_add_f64 v[18:19], v[94:95], -v[18:19]
	s_waitcnt vmcnt(5)
	v_mul_f64 v[50:51], v[153:154], v[54:55]
	v_mul_f64 v[54:55], v[12:13], v[54:55]
	s_waitcnt vmcnt(4)
	v_mul_f64 v[139:140], v[155:156], v[58:59]
	v_mul_f64 v[58:59], v[14:15], v[58:59]
	v_fma_f64 v[8:9], v[8:9], v[44:45], -v[38:39]
	v_fma_f64 v[38:39], v[145:146], v[44:45], v[40:41]
	v_fma_f64 v[10:11], v[10:11], v[48:49], -v[42:43]
	v_fma_f64 v[40:41], v[147:148], v[48:49], v[46:47]
	;; [unrolled: 2-line block ×3, first 2 shown]
	v_fma_f64 v[14:15], v[14:15], v[56:57], -v[139:140]
	s_waitcnt vmcnt(3)
	v_mul_f64 v[46:47], v[157:158], v[62:63]
	s_waitcnt vmcnt(2)
	v_mul_f64 v[50:51], v[159:160], v[66:67]
	v_fma_f64 v[44:45], v[155:156], v[56:57], v[58:59]
	v_mul_f64 v[48:49], v[0:1], v[62:63]
	v_mul_f64 v[52:53], v[2:3], v[66:67]
	v_add_f64 v[20:21], v[90:91], -v[20:21]
	v_add_f64 v[8:9], v[86:87], -v[8:9]
	;; [unrolled: 1-line block ×3, first 2 shown]
	v_fma_f64 v[0:1], v[0:1], v[60:61], -v[46:47]
	s_waitcnt vmcnt(1)
	v_mul_f64 v[54:55], v[161:162], v[74:75]
	v_mul_f64 v[56:57], v[4:5], v[74:75]
	v_fma_f64 v[2:3], v[2:3], v[64:65], -v[50:51]
	v_fma_f64 v[46:47], v[157:158], v[60:61], v[48:49]
	s_waitcnt vmcnt(0)
	v_mul_f64 v[58:59], v[163:164], v[135:136]
	v_mul_f64 v[62:63], v[6:7], v[135:136]
	v_fma_f64 v[48:49], v[159:160], v[64:65], v[52:53]
	v_add_f64 v[0:1], v[78:79], -v[0:1]
	v_fma_f64 v[4:5], v[4:5], v[72:73], -v[54:55]
	v_add_f64 v[54:55], v[27:28], -v[137:138]
	v_fma_f64 v[50:51], v[161:162], v[72:73], v[56:57]
	v_add_f64 v[56:57], v[68:69], -v[32:33]
	v_fma_f64 v[6:7], v[6:7], v[133:134], -v[58:59]
	v_fma_f64 v[32:33], v[96:97], 2.0, -v[16:17]
	v_fma_f64 v[52:53], v[163:164], v[133:134], v[62:63]
	v_fma_f64 v[64:65], v[90:91], 2.0, -v[20:21]
	v_add_f64 v[2:3], v[76:77], -v[2:3]
	v_fma_f64 v[60:61], v[27:28], 2.0, -v[54:55]
	v_fma_f64 v[27:28], v[94:95], 2.0, -v[18:19]
	;; [unrolled: 1-line block ×3, first 2 shown]
	v_add_f64 v[4:5], v[70:71], -v[4:5]
	v_fma_f64 v[62:63], v[68:69], 2.0, -v[56:57]
	v_fma_f64 v[68:69], v[88:89], 2.0, -v[22:23]
	v_add_f64 v[10:11], v[84:85], -v[10:11]
	v_add_f64 v[12:13], v[82:83], -v[12:13]
	v_add_f64 v[14:15], v[80:81], -v[14:15]
	v_add_f64 v[6:7], v[30:31], -v[6:7]
	v_add_f64 v[58:59], v[92:93], -v[34:35]
	v_add_f64 v[35:36], v[165:166], -v[36:37]
	ds_write2_b64 v150, v[32:33], v[16:17] offset1:52
	ds_write2_b64 v150, v[27:28], v[18:19] offset0:104 offset1:156
	v_lshl_add_u32 v16, v109, 3, 0
	v_add_f64 v[37:38], v[167:168], -v[38:39]
	v_add_f64 v[39:40], v[169:170], -v[40:41]
	;; [unrolled: 1-line block ×8, first 2 shown]
	v_fma_f64 v[78:79], v[78:79], 2.0, -v[0:1]
	v_add_u32_e32 v53, 0x400, v16
	v_lshl_add_u32 v16, v111, 3, 0
	ds_write2_b64 v53, v[64:65], v[20:21] offset0:80 offset1:132
	v_add_u32_e32 v64, 0x800, v16
	v_lshl_add_u32 v16, v116, 3, 0
	v_fma_f64 v[76:77], v[76:77], 2.0, -v[2:3]
	v_add_u32_e32 v65, 0x800, v16
	v_fma_f64 v[70:71], v[70:71], 2.0, -v[4:5]
	ds_write2_b64 v65, v[74:75], v[8:9] offset0:160 offset1:212
	v_lshl_add_u32 v8, v121, 3, 0
	v_fma_f64 v[84:85], v[84:85], 2.0, -v[10:11]
	v_fma_f64 v[82:83], v[82:83], 2.0, -v[12:13]
	;; [unrolled: 1-line block ×4, first 2 shown]
	ds_write2_b64 v64, v[68:69], v[22:23] offset0:56 offset1:108
	v_add_u32_e32 v68, 0x1000, v8
	v_lshl_add_u32 v8, v195, 3, 0
	v_add_u32_e32 v69, 0x1000, v8
	v_lshl_add_u32 v8, v197, 3, 0
	v_fma_f64 v[66:67], v[92:93], 2.0, -v[58:59]
	v_add_u32_e32 v74, 0x1400, v8
	v_lshl_add_u32 v8, v198, 3, 0
	v_fma_f64 v[72:73], v[165:166], 2.0, -v[35:36]
	v_add_u32_e32 v75, 0x1800, v8
	v_fma_f64 v[86:87], v[167:168], 2.0, -v[37:38]
	ds_write2_b64 v75, v[78:79], v[0:1] offset0:64 offset1:116
	v_lshl_add_u32 v0, v199, 3, 0
	v_fma_f64 v[88:89], v[169:170], 2.0, -v[39:40]
	v_add_u32_e32 v78, 0x1800, v0
	v_lshl_add_u32 v0, v200, 3, 0
	v_fma_f64 v[90:91], v[171:172], 2.0, -v[41:42]
	ds_write2_b64 v78, v[76:77], v[2:3] offset0:168 offset1:220
	v_add_u32_e32 v76, 0x2000, v0
	v_lshl_add_u32 v0, v201, 3, 0
	v_fma_f64 v[92:93], v[173:174], 2.0, -v[43:44]
	ds_write2_b64 v76, v[70:71], v[4:5] offset0:16 offset1:68
	v_add_u32_e32 v70, 0x2000, v0
	v_add_u32_e32 v109, 0xc00, v150
	;; [unrolled: 1-line block ×3, first 2 shown]
	v_mov_b32_e32 v121, v101
	v_fma_f64 v[94:95], v[175:176], 2.0, -v[45:46]
	v_fma_f64 v[96:97], v[177:178], 2.0, -v[47:48]
	;; [unrolled: 1-line block ×4, first 2 shown]
	ds_write2_b64 v68, v[84:85], v[10:11] offset0:8 offset1:60
	ds_write2_b64 v69, v[82:83], v[12:13] offset0:112 offset1:164
	;; [unrolled: 1-line block ×4, first 2 shown]
	s_waitcnt lgkmcnt(0)
	; wave barrier
	s_waitcnt lgkmcnt(0)
	ds_read_b64 v[22:23], v150
	ds_read2_b64 v[2:5], v131 offset0:12 offset1:64
	ds_read2_b64 v[6:9], v109 offset0:84 offset1:136
	;; [unrolled: 1-line block ×3, first 2 shown]
	ds_read_b64 v[153:154], v152
	ds_read2_b64 v[14:17], v129 offset0:60 offset1:112
	ds_read2_b64 v[18:21], v111 offset0:92 offset1:144
	;; [unrolled: 1-line block ×4, first 2 shown]
	ds_read_b64 v[155:156], v98
	ds_read_b64 v[157:158], v99
	;; [unrolled: 1-line block ×7, first 2 shown]
	ds_read_b64 v[167:168], v150 offset:9568
	s_waitcnt lgkmcnt(0)
	; wave barrier
	s_waitcnt lgkmcnt(0)
	ds_write2_b64 v150, v[60:61], v[54:55] offset1:52
	ds_write2_b64 v150, v[62:63], v[56:57] offset0:104 offset1:156
	ds_write2_b64 v53, v[66:67], v[58:59] offset0:80 offset1:132
	;; [unrolled: 1-line block ×11, first 2 shown]
	v_lshlrev_b64 v[35:36], 4, v[120:121]
	s_waitcnt lgkmcnt(0)
	v_add_co_u32_e64 v39, s[0:1], s8, v35
	v_addc_co_u32_e64 v40, s[0:1], v26, v36, s[0:1]
	; wave barrier
	global_load_dwordx4 v[35:38], v[39:40], off offset:1632
	s_nop 0
	global_load_dwordx4 v[39:42], v[39:40], off offset:1648
	v_mov_b32_e32 v120, v101
	v_lshlrev_b64 v[43:44], 4, v[119:120]
	v_lshrrev_b32_e32 v75, 21, v196
	v_add_co_u32_e64 v51, s[0:1], s8, v43
	v_addc_co_u32_e64 v52, s[0:1], v26, v44, s[0:1]
	global_load_dwordx4 v[43:46], v[51:52], off offset:1632
	global_load_dwordx4 v[47:50], v[51:52], off offset:1648
	v_lshrrev_b32_e32 v51, 21, v113
	v_mul_lo_u16_e32 v51, 0x68, v51
	v_sub_u16_e32 v97, v112, v51
	v_lshlrev_b32_e32 v59, 5, v97
	global_load_dwordx4 v[51:54], v59, s[8:9] offset:1632
	global_load_dwordx4 v[55:58], v59, s[8:9] offset:1648
	v_lshrrev_b32_e32 v59, 21, v193
	v_mul_lo_u16_e32 v59, 0x68, v59
	v_sub_u16_e32 v113, v115, v59
	v_lshlrev_b32_e32 v67, 5, v113
	global_load_dwordx4 v[59:62], v67, s[8:9] offset:1648
	global_load_dwordx4 v[63:66], v67, s[8:9] offset:1632
	v_lshrrev_b32_e32 v67, 21, v194
	v_mul_lo_u16_e32 v67, 0x68, v67
	v_sub_u16_e32 v116, v104, v67
	v_lshlrev_b32_e32 v71, 5, v116
	global_load_dwordx4 v[67:70], v71, s[8:9] offset:1632
	s_nop 0
	global_load_dwordx4 v[71:74], v71, s[8:9] offset:1648
	v_mul_lo_u16_e32 v75, 0x68, v75
	v_sub_u16_e32 v121, v105, v75
	v_lshlrev_b32_e32 v79, 5, v121
	global_load_dwordx4 v[75:78], v79, s[8:9] offset:1632
	s_nop 0
	global_load_dwordx4 v[79:82], v79, s[8:9] offset:1648
	ds_read_b64 v[95:96], v150
	ds_read2_b64 v[83:86], v131 offset0:12 offset1:64
	ds_read2_b64 v[87:90], v109 offset0:84 offset1:136
	;; [unrolled: 1-line block ×3, first 2 shown]
	ds_read_b64 v[119:120], v152
	ds_read2_b64 v[133:136], v129 offset0:60 offset1:112
	ds_read_b64 v[169:170], v125
	ds_read2_b64 v[137:140], v111 offset0:92 offset1:144
	ds_read2_b64 v[141:144], v129 offset0:164 offset1:216
	;; [unrolled: 1-line block ×3, first 2 shown]
	ds_read_b64 v[171:172], v124
	ds_read_b64 v[177:178], v98
	;; [unrolled: 1-line block ×6, first 2 shown]
	ds_read_b64 v[189:190], v150 offset:9568
	s_mov_b32 s0, 0xe8584caa
	s_mov_b32 s1, 0x3febb67a
	;; [unrolled: 1-line block ×3, first 2 shown]
	s_waitcnt lgkmcnt(0)
	; wave barrier
	s_waitcnt lgkmcnt(0)
	v_mov_b32_e32 v109, v101
	v_mov_b32_e32 v111, v101
	s_waitcnt vmcnt(11)
	v_mul_f64 v[173:174], v[169:170], v[37:38]
	v_mul_f64 v[175:176], v[163:164], v[37:38]
	;; [unrolled: 1-line block ×4, first 2 shown]
	s_waitcnt vmcnt(10)
	v_mul_f64 v[185:186], v[85:86], v[41:42]
	v_fma_f64 v[163:164], v[163:164], v[35:36], -v[173:174]
	v_mul_f64 v[173:174], v[4:5], v[41:42]
	v_fma_f64 v[169:170], v[169:170], v[35:36], v[175:176]
	s_waitcnt vmcnt(9)
	v_mul_f64 v[175:176], v[87:88], v[45:46]
	v_mul_f64 v[191:192], v[6:7], v[45:46]
	v_fma_f64 v[8:9], v[8:9], v[35:36], -v[195:196]
	v_fma_f64 v[35:36], v[89:90], v[35:36], v[37:38]
	v_mul_f64 v[37:38], v[133:134], v[45:46]
	v_mul_f64 v[45:46], v[14:15], v[45:46]
	v_fma_f64 v[85:86], v[85:86], v[39:40], v[173:174]
	v_mul_f64 v[173:174], v[93:94], v[41:42]
	v_mul_f64 v[41:42], v[12:13], v[41:42]
	v_fma_f64 v[4:5], v[4:5], v[39:40], -v[185:186]
	s_waitcnt vmcnt(8)
	v_mul_f64 v[185:186], v[91:92], v[49:50]
	v_mul_f64 v[193:194], v[10:11], v[49:50]
	v_fma_f64 v[6:7], v[6:7], v[43:44], -v[175:176]
	v_fma_f64 v[87:88], v[87:88], v[43:44], v[191:192]
	v_mul_f64 v[89:90], v[137:138], v[49:50]
	v_fma_f64 v[12:13], v[12:13], v[39:40], -v[173:174]
	v_mul_f64 v[49:50], v[18:19], v[49:50]
	s_waitcnt vmcnt(7)
	v_mul_f64 v[173:174], v[135:136], v[53:54]
	v_fma_f64 v[39:40], v[93:94], v[39:40], v[41:42]
	v_mul_f64 v[41:42], v[16:17], v[53:54]
	v_fma_f64 v[14:15], v[14:15], v[43:44], -v[37:38]
	v_fma_f64 v[37:38], v[133:134], v[43:44], v[45:46]
	s_waitcnt vmcnt(6)
	v_mul_f64 v[43:44], v[139:140], v[57:58]
	v_fma_f64 v[10:11], v[10:11], v[47:48], -v[185:186]
	v_fma_f64 v[91:92], v[91:92], v[47:48], v[193:194]
	v_fma_f64 v[18:19], v[18:19], v[47:48], -v[89:90]
	v_fma_f64 v[45:46], v[137:138], v[47:48], v[49:50]
	v_fma_f64 v[16:17], v[16:17], v[51:52], -v[173:174]
	v_mul_f64 v[47:48], v[20:21], v[57:58]
	v_fma_f64 v[41:42], v[135:136], v[51:52], v[41:42]
	s_waitcnt vmcnt(4)
	v_mul_f64 v[49:50], v[141:142], v[65:66]
	v_mul_f64 v[51:52], v[27:28], v[65:66]
	v_fma_f64 v[20:21], v[20:21], v[55:56], -v[43:44]
	v_mul_f64 v[43:44], v[145:146], v[61:62]
	v_mul_f64 v[53:54], v[31:32], v[61:62]
	s_waitcnt vmcnt(3)
	v_mul_f64 v[57:58], v[143:144], v[69:70]
	v_fma_f64 v[47:48], v[139:140], v[55:56], v[47:48]
	v_mul_f64 v[55:56], v[29:30], v[69:70]
	v_fma_f64 v[27:28], v[27:28], v[63:64], -v[49:50]
	v_fma_f64 v[49:50], v[141:142], v[63:64], v[51:52]
	s_waitcnt vmcnt(2)
	v_mul_f64 v[51:52], v[147:148], v[73:74]
	v_fma_f64 v[31:32], v[31:32], v[59:60], -v[43:44]
	v_fma_f64 v[43:44], v[145:146], v[59:60], v[53:54]
	v_fma_f64 v[29:30], v[29:30], v[67:68], -v[57:58]
	v_mul_f64 v[53:54], v[33:34], v[73:74]
	s_waitcnt vmcnt(1)
	v_mul_f64 v[57:58], v[83:84], v[77:78]
	v_add_f64 v[59:60], v[163:164], v[4:5]
	s_waitcnt vmcnt(0)
	v_mul_f64 v[61:62], v[189:190], v[81:82]
	v_fma_f64 v[33:34], v[33:34], v[71:72], -v[51:52]
	v_mul_f64 v[51:52], v[2:3], v[77:78]
	v_mul_f64 v[63:64], v[167:168], v[81:82]
	v_add_f64 v[65:66], v[22:23], v[163:164]
	v_fma_f64 v[53:54], v[147:148], v[71:72], v[53:54]
	v_fma_f64 v[2:3], v[2:3], v[75:76], -v[57:58]
	v_fma_f64 v[22:23], v[59:60], -0.5, v[22:23]
	v_add_f64 v[57:58], v[169:170], -v[85:86]
	v_add_f64 v[71:72], v[6:7], v[10:11]
	v_fma_f64 v[55:56], v[143:144], v[67:68], v[55:56]
	v_fma_f64 v[51:52], v[83:84], v[75:76], v[51:52]
	v_fma_f64 v[59:60], v[167:168], v[79:80], -v[61:62]
	v_fma_f64 v[61:62], v[189:190], v[79:80], v[63:64]
	v_add_f64 v[73:74], v[87:88], v[91:92]
	v_add_f64 v[75:76], v[87:88], -v[91:92]
	v_fma_f64 v[67:68], v[57:58], s[0:1], v[22:23]
	v_fma_f64 v[22:23], v[57:58], s[4:5], v[22:23]
	v_add_f64 v[57:58], v[165:166], v[6:7]
	v_fma_f64 v[71:72], v[71:72], -0.5, v[165:166]
	v_add_f64 v[79:80], v[8:9], v[12:13]
	v_add_f64 v[63:64], v[169:170], v[85:86]
	;; [unrolled: 1-line block ×3, first 2 shown]
	v_fma_f64 v[73:74], v[73:74], -0.5, v[187:188]
	v_add_f64 v[6:7], v[6:7], -v[10:11]
	v_add_f64 v[81:82], v[35:36], v[39:40]
	v_add_f64 v[57:58], v[57:58], v[10:11]
	v_fma_f64 v[10:11], v[75:76], s[0:1], v[71:72]
	v_fma_f64 v[71:72], v[75:76], s[4:5], v[71:72]
	v_add_f64 v[75:76], v[153:154], v[8:9]
	v_fma_f64 v[79:80], v[79:80], -0.5, v[153:154]
	v_add_f64 v[83:84], v[35:36], -v[39:40]
	v_add_f64 v[65:66], v[65:66], v[4:5]
	v_fma_f64 v[63:64], v[63:64], -0.5, v[95:96]
	v_add_f64 v[4:5], v[163:164], -v[4:5]
	v_add_f64 v[69:70], v[69:70], v[85:86]
	v_fma_f64 v[85:86], v[6:7], s[4:5], v[73:74]
	v_fma_f64 v[6:7], v[6:7], s[0:1], v[73:74]
	v_add_f64 v[35:36], v[119:120], v[35:36]
	v_add_f64 v[73:74], v[75:76], v[12:13]
	;; [unrolled: 1-line block ×3, first 2 shown]
	v_fma_f64 v[81:82], v[81:82], -0.5, v[119:120]
	v_add_f64 v[8:9], v[8:9], -v[12:13]
	v_fma_f64 v[12:13], v[83:84], s[0:1], v[79:80]
	v_fma_f64 v[79:80], v[83:84], s[4:5], v[79:80]
	v_add_f64 v[83:84], v[155:156], v[14:15]
	v_fma_f64 v[77:78], v[4:5], s[4:5], v[63:64]
	v_fma_f64 v[4:5], v[4:5], s[0:1], v[63:64]
	v_add_f64 v[63:64], v[187:188], v[87:88]
	v_add_f64 v[87:88], v[35:36], v[39:40]
	;; [unrolled: 1-line block ×3, first 2 shown]
	v_fma_f64 v[39:40], v[75:76], -0.5, v[155:156]
	v_add_f64 v[75:76], v[37:38], -v[45:46]
	v_fma_f64 v[89:90], v[8:9], s[4:5], v[81:82]
	v_fma_f64 v[8:9], v[8:9], s[0:1], v[81:82]
	v_add_f64 v[37:38], v[177:178], v[37:38]
	v_add_f64 v[81:82], v[83:84], v[18:19]
	;; [unrolled: 1-line block ×4, first 2 shown]
	v_fma_f64 v[35:36], v[35:36], -0.5, v[177:178]
	v_add_f64 v[14:15], v[14:15], -v[18:19]
	v_fma_f64 v[18:19], v[75:76], s[0:1], v[39:40]
	v_fma_f64 v[39:40], v[75:76], s[4:5], v[39:40]
	v_add_f64 v[75:76], v[157:158], v[16:17]
	v_add_f64 v[45:46], v[37:38], v[45:46]
	;; [unrolled: 1-line block ×3, first 2 shown]
	v_fma_f64 v[83:84], v[83:84], -0.5, v[157:158]
	v_add_f64 v[91:92], v[41:42], -v[47:48]
	v_add_f64 v[41:42], v[179:180], v[41:42]
	v_fma_f64 v[93:94], v[14:15], s[4:5], v[35:36]
	v_fma_f64 v[95:96], v[14:15], s[0:1], v[35:36]
	v_add_f64 v[14:15], v[75:76], v[20:21]
	v_add_f64 v[35:36], v[27:28], v[31:32]
	v_fma_f64 v[37:38], v[37:38], -0.5, v[179:180]
	v_add_f64 v[16:17], v[16:17], -v[20:21]
	v_fma_f64 v[20:21], v[91:92], s[0:1], v[83:84]
	v_fma_f64 v[75:76], v[91:92], s[4:5], v[83:84]
	v_add_f64 v[41:42], v[41:42], v[47:48]
	v_add_f64 v[47:48], v[49:50], v[43:44]
	;; [unrolled: 1-line block ×3, first 2 shown]
	v_fma_f64 v[35:36], v[35:36], -0.5, v[159:160]
	v_add_f64 v[91:92], v[49:50], -v[43:44]
	v_fma_f64 v[119:120], v[16:17], s[4:5], v[37:38]
	v_add_f64 v[133:134], v[29:30], v[33:34]
	v_fma_f64 v[16:17], v[16:17], s[0:1], v[37:38]
	v_add_f64 v[37:38], v[181:182], v[49:50]
	v_fma_f64 v[47:48], v[47:48], -0.5, v[181:182]
	v_add_f64 v[27:28], v[27:28], -v[31:32]
	v_add_f64 v[31:32], v[83:84], v[31:32]
	v_add_f64 v[83:84], v[161:162], v[29:30]
	v_fma_f64 v[49:50], v[91:92], s[0:1], v[35:36]
	v_fma_f64 v[133:134], v[133:134], -0.5, v[161:162]
	v_add_f64 v[135:136], v[55:56], -v[53:54]
	v_fma_f64 v[35:36], v[91:92], s[4:5], v[35:36]
	v_add_f64 v[43:44], v[37:38], v[43:44]
	v_fma_f64 v[91:92], v[27:28], s[4:5], v[47:48]
	v_add_f64 v[37:38], v[55:56], v[53:54]
	;; [unrolled: 2-line block ×3, first 2 shown]
	v_add_f64 v[83:84], v[2:3], v[59:60]
	v_fma_f64 v[137:138], v[135:136], s[0:1], v[133:134]
	v_fma_f64 v[133:134], v[135:136], s[4:5], v[133:134]
	v_add_f64 v[135:136], v[51:52], v[61:62]
	v_add_f64 v[55:56], v[183:184], v[55:56]
	v_fma_f64 v[37:38], v[37:38], -0.5, v[183:184]
	v_add_f64 v[29:30], v[29:30], -v[33:34]
	v_add_f64 v[33:34], v[0:1], v[2:3]
	v_fma_f64 v[0:1], v[83:84], -0.5, v[0:1]
	v_add_f64 v[83:84], v[51:52], -v[61:62]
	;; [unrolled: 3-line block ×3, first 2 shown]
	v_add_f64 v[53:54], v[55:56], v[53:54]
	v_fma_f64 v[55:56], v[29:30], s[4:5], v[37:38]
	v_fma_f64 v[139:140], v[29:30], s[0:1], v[37:38]
	v_add_f64 v[29:30], v[33:34], v[59:60]
	v_fma_f64 v[33:34], v[83:84], s[0:1], v[0:1]
	v_fma_f64 v[0:1], v[83:84], s[4:5], v[0:1]
	ds_write2_b64 v150, v[65:66], v[67:68] offset1:104
	ds_write_b64 v150, v[22:23] offset:1664
	ds_write2_b64 v151, v[57:58], v[10:11] offset1:104
	ds_write_b64 v151, v[71:72] offset:1664
	v_add_u32_e32 v10, 0x800, v150
	v_add_u32_e32 v11, 0x800, v151
	ds_write2_b64 v10, v[73:74], v[12:13] offset0:56 offset1:160
	ds_write_b64 v150, v[79:80] offset:4160
	ds_write2_b64 v11, v[81:82], v[18:19] offset0:56 offset1:160
	ds_write_b64 v151, v[39:40] offset:4160
	v_lshl_add_u32 v18, v97, 3, 0
	v_lshl_add_u32 v40, v113, 3, 0
	v_add_u32_e32 v19, 0x1000, v18
	v_add_u32_e32 v57, 0x1000, v40
	ds_write2_b64 v19, v[14:15], v[20:21] offset0:112 offset1:216
	ds_write_b64 v18, v[75:76] offset:6656
	ds_write2_b64 v57, v[31:32], v[49:50] offset0:112 offset1:216
	ds_write_b64 v40, v[35:36] offset:6656
	v_lshl_add_u32 v49, v116, 3, 0
	v_add_u32_e32 v50, 0x1c00, v49
	ds_write2_b64 v50, v[27:28], v[137:138] offset0:40 offset1:144
	ds_write_b64 v49, v[133:134] offset:9152
	v_lshl_add_u32 v27, v121, 3, 0
	v_add_u32_e32 v58, 0x1c00, v27
	v_add_f64 v[51:52], v[51:52], v[61:62]
	v_fma_f64 v[59:60], v[2:3], s[4:5], v[135:136]
	v_fma_f64 v[61:62], v[2:3], s[0:1], v[135:136]
	ds_write2_b64 v58, v[29:30], v[33:34] offset0:40 offset1:144
	ds_write_b64 v27, v[0:1] offset:9152
	s_waitcnt lgkmcnt(0)
	; wave barrier
	s_waitcnt lgkmcnt(0)
	ds_read2_b64 v[0:3], v129 offset0:112 offset1:164
	ds_read2_b64 v[12:15], v130 offset0:88 offset1:140
	ds_read_b64 v[133:134], v150
	ds_read_b64 v[135:136], v151
	ds_read_b64 v[137:138], v152
	ds_read_b64 v[141:142], v98
	ds_read2_b64 v[20:23], v131 offset0:64 offset1:116
	ds_read2_b64 v[28:31], v131 offset0:168 offset1:220
	ds_read_b64 v[143:144], v99
	ds_read_b64 v[145:146], v122
	ds_read_b64 v[147:148], v123
	ds_read_b64 v[153:154], v124
	;; [unrolled: 6-line block ×3, first 2 shown]
	s_waitcnt lgkmcnt(0)
	; wave barrier
	s_waitcnt lgkmcnt(0)
	ds_write2_b64 v150, v[69:70], v[77:78] offset1:104
	ds_write_b64 v150, v[4:5] offset:1664
	ds_write2_b64 v151, v[63:64], v[85:86] offset1:104
	ds_write_b64 v151, v[6:7] offset:1664
	ds_write2_b64 v10, v[87:88], v[89:90] offset0:56 offset1:160
	ds_write_b64 v150, v[8:9] offset:4160
	ds_write2_b64 v11, v[45:46], v[93:94] offset0:56 offset1:160
	;; [unrolled: 2-line block ×6, first 2 shown]
	ds_write_b64 v27, v[61:62] offset:9152
	v_mov_b32_e32 v119, v101
	v_add_co_u32_e64 v4, s[0:1], s33, v24
	v_lshlrev_b64 v[6:7], 4, v[118:119]
	v_addc_co_u32_e64 v5, s[0:1], 0, v25, s[0:1]
	v_add_co_u32_e64 v6, s[0:1], s8, v6
	v_addc_co_u32_e64 v7, s[0:1], v26, v7, s[0:1]
	v_add_co_u32_e64 v8, s[0:1], s33, v6
	s_waitcnt lgkmcnt(0)
	; wave barrier
	s_waitcnt lgkmcnt(0)
	v_addc_co_u32_e64 v9, s[0:1], 0, v7, s[0:1]
	global_load_dwordx4 v[40:43], v[4:5], off offset:864
	global_load_dwordx4 v[44:47], v[8:9], off offset:864
	v_lshlrev_b64 v[4:5], 4, v[108:109]
	v_lshlrev_b64 v[10:11], 4, v[110:111]
	v_add_co_u32_e64 v8, s[0:1], s8, v4
	v_addc_co_u32_e64 v9, s[0:1], v26, v5, s[0:1]
	v_add_co_u32_e64 v4, s[0:1], s33, v8
	v_addc_co_u32_e64 v5, s[0:1], 0, v9, s[0:1]
	;; [unrolled: 2-line block ×4, first 2 shown]
	global_load_dwordx4 v[48:51], v[4:5], off offset:864
	global_load_dwordx4 v[52:55], v[16:17], off offset:864
	v_mov_b32_e32 v113, v101
	v_lshlrev_b64 v[4:5], 4, v[112:113]
	v_mov_b32_e32 v116, v101
	v_add_co_u32_e64 v18, s[0:1], s8, v4
	v_addc_co_u32_e64 v19, s[0:1], v26, v5, s[0:1]
	v_add_co_u32_e64 v4, s[0:1], s33, v18
	v_addc_co_u32_e64 v5, s[0:1], 0, v19, s[0:1]
	global_load_dwordx4 v[56:59], v[4:5], off offset:864
	v_lshlrev_b64 v[4:5], 4, v[115:116]
	v_add_co_u32_e64 v27, s[0:1], s8, v4
	v_addc_co_u32_e64 v26, s[0:1], v26, v5, s[0:1]
	v_add_co_u32_e64 v4, s[0:1], s33, v27
	v_addc_co_u32_e64 v5, s[0:1], 0, v26, s[0:1]
	global_load_dwordx4 v[60:63], v[4:5], off offset:864
	ds_read2_b64 v[64:67], v129 offset0:112 offset1:164
	ds_read2_b64 v[68:71], v130 offset0:88 offset1:140
	ds_read_b64 v[4:5], v150
	ds_read_b64 v[16:17], v151
	ds_read_b64 v[88:89], v152
	ds_read_b64 v[90:91], v98
	ds_read2_b64 v[72:75], v131 offset0:64 offset1:116
	ds_read2_b64 v[76:79], v131 offset0:168 offset1:220
	ds_read_b64 v[92:93], v99
	ds_read_b64 v[94:95], v122
	ds_read_b64 v[96:97], v123
	ds_read_b64 v[108:109], v124
	;; [unrolled: 6-line block ×3, first 2 shown]
	s_waitcnt lgkmcnt(0)
	; wave barrier
	s_waitcnt vmcnt(5) lgkmcnt(0)
	v_mul_f64 v[120:121], v[64:65], v[42:43]
	v_mul_f64 v[139:140], v[0:1], v[42:43]
	s_waitcnt vmcnt(4)
	v_mul_f64 v[163:164], v[66:67], v[46:47]
	v_mul_f64 v[165:166], v[2:3], v[46:47]
	v_fma_f64 v[0:1], v[0:1], v[40:41], -v[120:121]
	v_fma_f64 v[64:65], v[64:65], v[40:41], v[139:140]
	v_fma_f64 v[2:3], v[2:3], v[44:45], -v[163:164]
	v_fma_f64 v[66:67], v[66:67], v[44:45], v[165:166]
	v_add_f64 v[0:1], v[133:134], -v[0:1]
	v_add_f64 v[2:3], v[135:136], -v[2:3]
	s_waitcnt vmcnt(3)
	v_mul_f64 v[167:168], v[68:69], v[50:51]
	v_mul_f64 v[169:170], v[12:13], v[50:51]
	s_waitcnt vmcnt(2)
	v_mul_f64 v[171:172], v[70:71], v[54:55]
	v_mul_f64 v[173:174], v[14:15], v[54:55]
	v_fma_f64 v[12:13], v[12:13], v[48:49], -v[167:168]
	v_fma_f64 v[68:69], v[68:69], v[48:49], v[169:170]
	v_mul_f64 v[167:168], v[76:77], v[42:43]
	v_mul_f64 v[42:43], v[28:29], v[42:43]
	;; [unrolled: 1-line block ×4, first 2 shown]
	s_waitcnt vmcnt(1)
	v_mul_f64 v[120:121], v[72:73], v[58:59]
	v_mul_f64 v[139:140], v[20:21], v[58:59]
	v_fma_f64 v[14:15], v[14:15], v[52:53], -v[171:172]
	v_fma_f64 v[70:71], v[70:71], v[52:53], v[173:174]
	v_fma_f64 v[28:29], v[28:29], v[40:41], -v[167:168]
	v_fma_f64 v[40:41], v[76:77], v[40:41], v[42:43]
	;; [unrolled: 2-line block ×3, first 2 shown]
	v_mul_f64 v[44:45], v[80:81], v[50:51]
	v_mul_f64 v[46:47], v[32:33], v[50:51]
	s_waitcnt vmcnt(0)
	v_mul_f64 v[163:164], v[74:75], v[62:63]
	v_mul_f64 v[165:166], v[22:23], v[62:63]
	;; [unrolled: 1-line block ×6, first 2 shown]
	v_fma_f64 v[20:21], v[20:21], v[56:57], -v[120:121]
	v_fma_f64 v[72:73], v[72:73], v[56:57], v[139:140]
	v_fma_f64 v[22:23], v[22:23], v[60:61], -v[163:164]
	v_fma_f64 v[74:75], v[74:75], v[60:61], v[165:166]
	v_mul_f64 v[54:55], v[34:35], v[54:55]
	v_mul_f64 v[58:59], v[36:37], v[58:59]
	v_fma_f64 v[32:33], v[32:33], v[48:49], -v[44:45]
	v_fma_f64 v[34:35], v[34:35], v[52:53], -v[50:51]
	v_fma_f64 v[36:37], v[36:37], v[56:57], -v[76:77]
	v_fma_f64 v[38:39], v[38:39], v[60:61], -v[78:79]
	v_fma_f64 v[50:51], v[86:87], v[60:61], v[62:63]
	v_add_f64 v[60:61], v[4:5], -v[64:65]
	v_add_f64 v[62:63], v[16:17], -v[66:67]
	;; [unrolled: 1-line block ×4, first 2 shown]
	v_fma_f64 v[44:45], v[80:81], v[48:49], v[46:47]
	v_fma_f64 v[46:47], v[82:83], v[52:53], v[54:55]
	v_fma_f64 v[48:49], v[84:85], v[56:57], v[58:59]
	v_add_f64 v[64:65], v[88:89], -v[68:69]
	v_add_f64 v[66:67], v[90:91], -v[70:71]
	;; [unrolled: 1-line block ×14, first 2 shown]
	v_fma_f64 v[52:53], v[133:134], 2.0, -v[0:1]
	v_fma_f64 v[68:69], v[4:5], 2.0, -v[60:61]
	v_fma_f64 v[4:5], v[135:136], 2.0, -v[2:3]
	v_fma_f64 v[70:71], v[16:17], 2.0, -v[62:63]
	v_fma_f64 v[16:17], v[137:138], 2.0, -v[12:13]
	v_fma_f64 v[54:55], v[141:142], 2.0, -v[14:15]
	v_fma_f64 v[76:77], v[88:89], 2.0, -v[64:65]
	v_fma_f64 v[78:79], v[90:91], 2.0, -v[66:67]
	v_fma_f64 v[40:41], v[143:144], 2.0, -v[20:21]
	v_fma_f64 v[84:85], v[92:93], 2.0, -v[72:73]
	v_fma_f64 v[42:43], v[145:146], 2.0, -v[22:23]
	v_fma_f64 v[86:87], v[94:95], 2.0, -v[74:75]
	v_fma_f64 v[56:57], v[147:148], 2.0, -v[28:29]
	v_fma_f64 v[88:89], v[96:97], 2.0, -v[80:81]
	v_fma_f64 v[58:59], v[153:154], 2.0, -v[30:31]
	v_fma_f64 v[90:91], v[108:109], 2.0, -v[82:83]
	v_add_f64 v[92:93], v[110:111], -v[44:45]
	v_add_f64 v[94:95], v[112:113], -v[46:47]
	;; [unrolled: 1-line block ×4, first 2 shown]
	v_fma_f64 v[44:45], v[155:156], 2.0, -v[32:33]
	v_fma_f64 v[46:47], v[157:158], 2.0, -v[34:35]
	;; [unrolled: 1-line block ×4, first 2 shown]
	ds_write_b64 v150, v[52:53]
	ds_write_b64 v150, v[0:1] offset:2496
	ds_write_b64 v151, v[4:5]
	ds_write_b64 v151, v[2:3] offset:2496
	;; [unrolled: 2-line block ×6, first 2 shown]
	ds_write_b64 v150, v[56:57] offset:4992
	ds_write_b64 v150, v[28:29] offset:7488
	ds_write_b64 v151, v[58:59] offset:4992
	ds_write_b64 v151, v[30:31] offset:7488
	ds_write_b64 v152, v[44:45] offset:4992
	ds_write_b64 v152, v[32:33] offset:7488
	ds_write_b64 v98, v[46:47] offset:4992
	ds_write_b64 v98, v[34:35] offset:7488
	ds_write_b64 v99, v[48:49] offset:4992
	ds_write_b64 v99, v[36:37] offset:7488
	ds_write_b64 v122, v[50:51] offset:4992
	ds_write_b64 v122, v[38:39] offset:7488
	s_waitcnt lgkmcnt(0)
	; wave barrier
	s_waitcnt lgkmcnt(0)
	ds_read2_b64 v[12:15], v129 offset0:112 offset1:164
	ds_read2_b64 v[20:23], v130 offset0:88 offset1:140
	ds_read_b64 v[40:41], v150
	ds_read_b64 v[42:43], v151
	ds_read_b64 v[44:45], v152
	ds_read_b64 v[46:47], v98
	ds_read2_b64 v[32:35], v131 offset0:64 offset1:116
	ds_read2_b64 v[36:39], v131 offset0:168 offset1:220
	ds_read_b64 v[48:49], v99
	ds_read_b64 v[50:51], v122
	ds_read_b64 v[52:53], v123
	ds_read_b64 v[54:55], v124
	;; [unrolled: 6-line block ×3, first 2 shown]
	v_fma_f64 v[110:111], v[110:111], 2.0, -v[92:93]
	v_fma_f64 v[112:113], v[112:113], 2.0, -v[94:95]
	;; [unrolled: 1-line block ×4, first 2 shown]
	s_waitcnt lgkmcnt(0)
	; wave barrier
	s_waitcnt lgkmcnt(0)
	ds_write_b64 v150, v[68:69]
	ds_write_b64 v150, v[60:61] offset:2496
	ds_write_b64 v151, v[70:71]
	ds_write_b64 v151, v[62:63] offset:2496
	;; [unrolled: 2-line block ×6, first 2 shown]
	ds_write_b64 v150, v[88:89] offset:4992
	ds_write_b64 v150, v[80:81] offset:7488
	;; [unrolled: 1-line block ×12, first 2 shown]
	s_waitcnt lgkmcnt(0)
	; wave barrier
	s_waitcnt lgkmcnt(0)
	s_and_saveexec_b64 s[0:1], vcc
	s_cbranch_execz .LBB0_23
; %bb.22:
	v_mov_b32_e32 v118, v101
	v_lshlrev_b64 v[60:61], 4, v[117:118]
	v_mov_b32_e32 v82, s9
	v_add_co_u32_e32 v60, vcc, s8, v60
	v_addc_co_u32_e32 v61, vcc, v82, v61, vcc
	v_mov_b32_e32 v115, v101
	v_add_co_u32_e32 v60, vcc, 0x2000, v60
	v_lshlrev_b64 v[64:65], 4, v[114:115]
	v_addc_co_u32_e32 v61, vcc, 0, v61, vcc
	global_load_dwordx4 v[60:63], v[60:61], off offset:1760
	v_add_co_u32_e32 v64, vcc, s8, v64
	s_movk_i32 s0, 0x2000
	v_addc_co_u32_e32 v65, vcc, v82, v65, vcc
	v_add_co_u32_e32 v64, vcc, s0, v64
	v_addc_co_u32_e32 v65, vcc, 0, v65, vcc
	global_load_dwordx4 v[64:67], v[64:65], off offset:1760
	v_mov_b32_e32 v108, v101
	v_lshlrev_b64 v[68:69], 4, v[107:108]
	v_mov_b32_e32 v107, v101
	v_add_co_u32_e32 v68, vcc, s8, v68
	v_addc_co_u32_e32 v69, vcc, v82, v69, vcc
	v_add_co_u32_e32 v68, vcc, s0, v68
	v_addc_co_u32_e32 v69, vcc, 0, v69, vcc
	global_load_dwordx4 v[68:71], v[68:69], off offset:1760
	v_lshlrev_b64 v[72:73], 4, v[106:107]
	v_mov_b32_e32 v106, v101
	v_add_co_u32_e32 v72, vcc, s8, v72
	v_addc_co_u32_e32 v73, vcc, v82, v73, vcc
	v_add_co_u32_e32 v72, vcc, s0, v72
	v_lshlrev_b64 v[76:77], 4, v[105:106]
	v_addc_co_u32_e32 v73, vcc, 0, v73, vcc
	global_load_dwordx4 v[72:75], v[72:73], off offset:1760
	v_add_co_u32_e32 v76, vcc, s8, v76
	v_addc_co_u32_e32 v77, vcc, v82, v77, vcc
	v_add_co_u32_e32 v76, vcc, s0, v76
	v_addc_co_u32_e32 v77, vcc, 0, v77, vcc
	global_load_dwordx4 v[76:79], v[76:77], off offset:1760
	v_mov_b32_e32 v105, v101
	v_lshlrev_b64 v[80:81], 4, v[104:105]
	v_add_u32_e32 v101, 0x1800, v150
	v_add_co_u32_e32 v80, vcc, s8, v80
	v_addc_co_u32_e32 v81, vcc, v82, v81, vcc
	v_add_co_u32_e32 v80, vcc, s0, v80
	v_addc_co_u32_e32 v81, vcc, 0, v81, vcc
	global_load_dwordx4 v[80:83], v[80:81], off offset:1760
	v_add_co_u32_e32 v84, vcc, s0, v27
	v_addc_co_u32_e32 v85, vcc, 0, v26, vcc
	global_load_dwordx4 v[84:87], v[84:85], off offset:1760
	;; [unrolled: 3-line block ×4, first 2 shown]
	v_add_u32_e32 v26, 0x2000, v150
	ds_read2_b64 v[88:91], v26 offset0:120 offset1:172
	ds_read_b64 v[10:11], v128
	ds_read_b64 v[96:97], v127
	ds_read2_b64 v[108:111], v26 offset0:16 offset1:68
	v_add_co_u32_e32 v8, vcc, s0, v8
	v_addc_co_u32_e32 v9, vcc, 0, v9, vcc
	s_waitcnt vmcnt(8) lgkmcnt(3)
	v_mul_f64 v[18:19], v[60:61], v[90:91]
	v_mul_f64 v[26:27], v[62:63], v[90:91]
	v_fma_f64 v[18:19], v[2:3], v[62:63], v[18:19]
	v_fma_f64 v[26:27], v[2:3], v[60:61], -v[26:27]
	s_waitcnt vmcnt(7)
	v_mul_f64 v[90:91], v[64:65], v[88:89]
	v_mul_f64 v[88:89], v[66:67], v[88:89]
	global_load_dwordx4 v[60:63], v[8:9], off offset:1760
	s_waitcnt lgkmcnt(2)
	v_add_f64 v[2:3], v[10:11], -v[18:19]
	v_fma_f64 v[114:115], v[0:1], v[66:67], v[90:91]
	v_fma_f64 v[116:117], v[0:1], v[64:65], -v[88:89]
	v_add_co_u32_e32 v0, vcc, s0, v6
	v_addc_co_u32_e32 v1, vcc, 0, v7, vcc
	global_load_dwordx4 v[64:67], v[0:1], off offset:1760
	v_add_co_u32_e32 v0, vcc, s0, v24
	v_addc_co_u32_e32 v1, vcc, 0, v25, vcc
	global_load_dwordx4 v[88:91], v[0:1], off offset:1760
	s_waitcnt vmcnt(9) lgkmcnt(0)
	v_mul_f64 v[112:113], v[68:69], v[110:111]
	v_mul_f64 v[18:19], v[70:71], v[110:111]
	v_fma_f64 v[6:7], v[10:11], 2.0, -v[2:3]
	v_add_f64 v[10:11], v[96:97], -v[114:115]
	ds_read_b64 v[110:111], v126
	v_add_f64 v[0:1], v[4:5], -v[26:27]
	v_add_f64 v[8:9], v[16:17], -v[116:117]
	ds_read_b64 v[116:117], v99
	v_fma_f64 v[24:25], v[30:31], v[70:71], v[112:113]
	v_fma_f64 v[18:19], v[30:31], v[68:69], -v[18:19]
	ds_read2_b64 v[68:71], v101 offset0:168 offset1:220
	s_waitcnt vmcnt(8)
	v_mul_f64 v[30:31], v[72:73], v[108:109]
	v_mul_f64 v[108:109], v[74:75], v[108:109]
	ds_read_b64 v[112:113], v125
	v_fma_f64 v[16:17], v[16:17], 2.0, -v[8:9]
	s_waitcnt vmcnt(7) lgkmcnt(1)
	v_mul_f64 v[114:115], v[76:77], v[70:71]
	v_add_f64 v[26:27], v[110:111], -v[24:25]
	v_add_f64 v[24:25], v[58:59], -v[18:19]
	v_fma_f64 v[18:19], v[96:97], 2.0, -v[10:11]
	v_fma_f64 v[74:75], v[28:29], v[74:75], v[30:31]
	v_fma_f64 v[96:97], v[28:29], v[72:73], -v[108:109]
	v_fma_f64 v[4:5], v[4:5], 2.0, -v[0:1]
	v_fma_f64 v[108:109], v[38:39], v[78:79], v[114:115]
	ds_read_b64 v[114:115], v124
	v_mul_f64 v[78:79], v[78:79], v[70:71]
	v_fma_f64 v[30:31], v[110:111], 2.0, -v[26:27]
	s_waitcnt lgkmcnt(1)
	v_add_f64 v[72:73], v[112:113], -v[74:75]
	v_fma_f64 v[28:29], v[58:59], 2.0, -v[24:25]
	s_waitcnt vmcnt(6)
	v_mul_f64 v[74:75], v[80:81], v[68:69]
	v_add_f64 v[70:71], v[56:57], -v[96:97]
	s_waitcnt lgkmcnt(0)
	v_add_f64 v[58:59], v[114:115], -v[108:109]
	ds_read2_b64 v[108:111], v101 offset0:64 offset1:116
	v_fma_f64 v[78:79], v[38:39], v[76:77], -v[78:79]
	v_mul_f64 v[68:69], v[82:83], v[68:69]
	v_fma_f64 v[76:77], v[112:113], 2.0, -v[72:73]
	ds_read_b64 v[96:97], v123
	s_waitcnt vmcnt(5) lgkmcnt(1)
	v_mul_f64 v[112:113], v[84:85], v[110:111]
	v_fma_f64 v[82:83], v[36:37], v[82:83], v[74:75]
	v_mul_f64 v[110:111], v[86:87], v[110:111]
	v_fma_f64 v[74:75], v[56:57], 2.0, -v[70:71]
	v_add_f64 v[56:57], v[54:55], -v[78:79]
	v_fma_f64 v[36:37], v[36:37], v[80:81], -v[68:69]
	ds_read_b64 v[68:69], v122
	v_add_u32_e32 v78, 0x1400, v150
	v_fma_f64 v[86:87], v[34:35], v[86:87], v[112:113]
	s_waitcnt vmcnt(4)
	v_mul_f64 v[112:113], v[92:93], v[108:109]
	s_waitcnt lgkmcnt(1)
	v_add_f64 v[80:81], v[96:97], -v[82:83]
	v_fma_f64 v[34:35], v[34:35], v[84:85], -v[110:111]
	ds_read2_b64 v[82:85], v78 offset0:88 offset1:140
	v_fma_f64 v[38:39], v[114:115], 2.0, -v[58:59]
	v_add_f64 v[78:79], v[52:53], -v[36:37]
	v_mul_f64 v[114:115], v[94:95], v[108:109]
	s_waitcnt lgkmcnt(1)
	v_add_f64 v[110:111], v[68:69], -v[86:87]
	s_waitcnt vmcnt(3) lgkmcnt(0)
	v_mul_f64 v[118:119], v[104:105], v[84:85]
	v_fma_f64 v[36:37], v[54:55], 2.0, -v[56:57]
	v_fma_f64 v[54:55], v[32:33], v[94:95], v[112:113]
	v_add_f64 v[108:109], v[50:51], -v[34:35]
	v_fma_f64 v[34:35], v[96:97], 2.0, -v[80:81]
	v_add_u32_e32 v96, 0x1000, v150
	v_fma_f64 v[92:93], v[32:33], v[92:93], -v[114:115]
	v_fma_f64 v[32:33], v[52:53], 2.0, -v[78:79]
	v_fma_f64 v[94:95], v[22:23], v[106:107], v[118:119]
	v_fma_f64 v[52:53], v[68:69], 2.0, -v[110:111]
	ds_read_b64 v[68:69], v98
	v_add_f64 v[86:87], v[116:117], -v[54:55]
	v_mul_f64 v[54:55], v[106:107], v[84:85]
	ds_read2_b64 v[96:99], v96 offset0:112 offset1:164
	v_add_f64 v[84:85], v[48:49], -v[92:93]
	s_waitcnt vmcnt(2)
	v_mul_f64 v[92:93], v[60:61], v[82:83]
	s_waitcnt lgkmcnt(1)
	v_add_f64 v[94:95], v[68:69], -v[94:95]
	v_mul_f64 v[82:83], v[62:63], v[82:83]
	ds_read_b64 v[112:113], v152
	v_fma_f64 v[106:107], v[116:117], 2.0, -v[86:87]
	v_fma_f64 v[54:55], v[22:23], v[104:105], -v[54:55]
	v_fma_f64 v[50:51], v[50:51], 2.0, -v[108:109]
	v_fma_f64 v[104:105], v[48:49], 2.0, -v[84:85]
	s_waitcnt vmcnt(1) lgkmcnt(1)
	v_mul_f64 v[48:49], v[64:65], v[98:99]
	v_fma_f64 v[22:23], v[68:69], 2.0, -v[94:95]
	v_fma_f64 v[62:63], v[20:21], v[62:63], v[92:93]
	v_mul_f64 v[68:69], v[66:67], v[98:99]
	s_waitcnt vmcnt(0)
	v_mul_f64 v[98:99], v[88:89], v[96:97]
	v_add_f64 v[92:93], v[46:47], -v[54:55]
	v_fma_f64 v[54:55], v[20:21], v[60:61], -v[82:83]
	ds_read_b64 v[82:83], v151
	v_mul_f64 v[60:61], v[90:91], v[96:97]
	v_fma_f64 v[66:67], v[14:15], v[66:67], v[48:49]
	s_waitcnt lgkmcnt(1)
	v_add_f64 v[48:49], v[112:113], -v[62:63]
	v_fma_f64 v[64:65], v[14:15], v[64:65], -v[68:69]
	v_fma_f64 v[68:69], v[12:13], v[90:91], v[98:99]
	ds_read_b64 v[90:91], v150
	v_fma_f64 v[20:21], v[46:47], 2.0, -v[92:93]
	v_add_f64 v[46:47], v[44:45], -v[54:55]
	v_fma_f64 v[60:61], v[12:13], v[88:89], -v[60:61]
	s_waitcnt lgkmcnt(1)
	v_add_f64 v[14:15], v[82:83], -v[66:67]
	v_mad_u64_u32 v[54:55], s[0:1], s2, v100, 0
	v_add_f64 v[12:13], v[42:43], -v[64:65]
	s_waitcnt lgkmcnt(0)
	v_add_f64 v[66:67], v[90:91], -v[68:69]
	v_mad_u64_u32 v[68:69], s[0:1], s3, v100, v[55:56]
	v_add_f64 v[64:65], v[40:41], -v[60:61]
	v_fma_f64 v[60:61], v[44:45], 2.0, -v[46:47]
	v_fma_f64 v[44:45], v[82:83], 2.0, -v[14:15]
	v_mov_b32_e32 v55, v68
	v_add_co_u32_e32 v82, vcc, s12, v102
	v_fma_f64 v[90:91], v[90:91], 2.0, -v[66:67]
	v_add_u32_e32 v68, 0x270, v100
	v_fma_f64 v[88:89], v[40:41], 2.0, -v[64:65]
	v_mov_b32_e32 v40, s13
	v_addc_co_u32_e32 v83, vcc, v40, v103, vcc
	v_lshlrev_b64 v[40:41], 4, v[54:55]
	v_mad_u64_u32 v[54:55], s[0:1], s2, v68, 0
	v_add_co_u32_e32 v40, vcc, v82, v40
	v_addc_co_u32_e32 v41, vcc, v83, v41, vcc
	global_store_dwordx4 v[40:41], v[88:91], off
	v_mov_b32_e32 v40, v55
	v_mad_u64_u32 v[40:41], s[0:1], s3, v68, v[40:41]
	v_mad_u64_u32 v[68:69], s[0:1], s2, v149, 0
	v_mov_b32_e32 v55, v40
	v_lshlrev_b64 v[40:41], 4, v[54:55]
	v_mov_b32_e32 v54, v69
	v_mad_u64_u32 v[54:55], s[4:5], s3, v149, v[54:55]
	v_add_co_u32_e32 v40, vcc, v82, v40
	v_addc_co_u32_e32 v41, vcc, v83, v41, vcc
	global_store_dwordx4 v[40:41], v[64:67], off
	v_mov_b32_e32 v69, v54
	v_add_u32_e32 v64, 0x2a4, v100
	v_mad_u64_u32 v[54:55], s[4:5], s2, v64, 0
	v_fma_f64 v[42:43], v[42:43], 2.0, -v[12:13]
	v_lshlrev_b64 v[40:41], 4, v[68:69]
	v_mad_u64_u32 v[64:65], s[4:5], s3, v64, v[55:56]
	v_add_co_u32_e32 v40, vcc, v82, v40
	v_addc_co_u32_e32 v41, vcc, v83, v41, vcc
	v_add_u32_e32 v67, 0x68, v100
	v_mov_b32_e32 v55, v64
	v_mad_u64_u32 v[65:66], s[4:5], s2, v67, 0
	global_store_dwordx4 v[40:41], v[42:45], off
	v_lshlrev_b64 v[40:41], 4, v[54:55]
	v_mov_b32_e32 v42, v66
	v_add_co_u32_e32 v40, vcc, v82, v40
	v_addc_co_u32_e32 v41, vcc, v83, v41, vcc
	global_store_dwordx4 v[40:41], v[12:15], off
	v_add_u32_e32 v40, 0x2d8, v100
	v_mad_u64_u32 v[42:43], s[4:5], s3, v67, v[42:43]
	v_mad_u64_u32 v[14:15], s[4:5], s2, v40, 0
	v_fma_f64 v[62:63], v[112:113], 2.0, -v[48:49]
	v_mov_b32_e32 v66, v42
	v_mad_u64_u32 v[40:41], s[4:5], s3, v40, v[15:16]
	v_add_u32_e32 v43, 0x9c, v100
	v_lshlrev_b64 v[12:13], 4, v[65:66]
	v_mad_u64_u32 v[41:42], s[4:5], s2, v43, 0
	v_add_co_u32_e32 v12, vcc, v82, v12
	v_addc_co_u32_e32 v13, vcc, v83, v13, vcc
	v_mov_b32_e32 v15, v40
	global_store_dwordx4 v[12:13], v[60:63], off
	v_lshlrev_b64 v[12:13], 4, v[14:15]
	v_mov_b32_e32 v14, v42
	v_mad_u64_u32 v[14:15], s[4:5], s3, v43, v[14:15]
	v_add_u32_e32 v40, 0x30c, v100
	v_add_co_u32_e32 v12, vcc, v82, v12
	v_mov_b32_e32 v42, v14
	v_mad_u64_u32 v[14:15], s[4:5], s2, v40, 0
	v_addc_co_u32_e32 v13, vcc, v83, v13, vcc
	global_store_dwordx4 v[12:13], v[46:49], off
	v_lshlrev_b64 v[12:13], 4, v[41:42]
	v_mad_u64_u32 v[40:41], s[4:5], s3, v40, v[15:16]
	v_add_u32_e32 v43, 0xd0, v100
	v_mad_u64_u32 v[41:42], s[4:5], s2, v43, 0
	v_add_co_u32_e32 v12, vcc, v82, v12
	v_addc_co_u32_e32 v13, vcc, v83, v13, vcc
	v_mov_b32_e32 v15, v40
	global_store_dwordx4 v[12:13], v[20:23], off
	v_lshlrev_b64 v[12:13], 4, v[14:15]
	v_mov_b32_e32 v14, v42
	v_mad_u64_u32 v[14:15], s[4:5], s3, v43, v[14:15]
	v_or_b32_e32 v20, 0x340, v100
	v_add_co_u32_e32 v12, vcc, v82, v12
	v_mov_b32_e32 v42, v14
	v_mad_u64_u32 v[14:15], s[4:5], s2, v20, 0
	v_addc_co_u32_e32 v13, vcc, v83, v13, vcc
	v_mad_u64_u32 v[20:21], s[4:5], s3, v20, v[15:16]
	v_add_u32_e32 v23, 0x104, v100
	global_store_dwordx4 v[12:13], v[92:95], off
	v_lshlrev_b64 v[12:13], 4, v[41:42]
	v_mad_u64_u32 v[21:22], s[4:5], s2, v23, 0
	v_add_co_u32_e32 v12, vcc, v82, v12
	v_addc_co_u32_e32 v13, vcc, v83, v13, vcc
	v_mov_b32_e32 v15, v20
	global_store_dwordx4 v[12:13], v[104:107], off
	v_lshlrev_b64 v[12:13], 4, v[14:15]
	v_mov_b32_e32 v14, v22
	v_mad_u64_u32 v[14:15], s[4:5], s3, v23, v[14:15]
	v_add_u32_e32 v20, 0x374, v100
	v_add_co_u32_e32 v12, vcc, v82, v12
	v_mov_b32_e32 v22, v14
	v_mad_u64_u32 v[14:15], s[4:5], s2, v20, 0
	v_addc_co_u32_e32 v13, vcc, v83, v13, vcc
	global_store_dwordx4 v[12:13], v[84:87], off
	v_lshlrev_b64 v[12:13], 4, v[21:22]
	v_mad_u64_u32 v[20:21], s[4:5], s3, v20, v[15:16]
	v_add_u32_e32 v23, 0x138, v100
	v_mad_u64_u32 v[21:22], s[4:5], s2, v23, 0
	v_add_co_u32_e32 v12, vcc, v82, v12
	v_addc_co_u32_e32 v13, vcc, v83, v13, vcc
	v_mov_b32_e32 v15, v20
	global_store_dwordx4 v[12:13], v[50:53], off
	v_lshlrev_b64 v[12:13], 4, v[14:15]
	v_mov_b32_e32 v14, v22
	v_mad_u64_u32 v[14:15], s[4:5], s3, v23, v[14:15]
	v_add_u32_e32 v20, 0x3a8, v100
	v_add_co_u32_e32 v12, vcc, v82, v12
	v_mov_b32_e32 v22, v14
	v_mad_u64_u32 v[14:15], s[4:5], s2, v20, 0
	v_addc_co_u32_e32 v13, vcc, v83, v13, vcc
	global_store_dwordx4 v[12:13], v[108:111], off
	v_lshlrev_b64 v[12:13], 4, v[21:22]
	v_mad_u64_u32 v[20:21], s[4:5], s3, v20, v[15:16]
	v_add_u32_e32 v23, 0x16c, v100
	;; [unrolled: 17-line block ×3, first 2 shown]
	v_mad_u64_u32 v[21:22], s[4:5], s2, v23, 0
	v_add_co_u32_e32 v12, vcc, v82, v12
	v_addc_co_u32_e32 v13, vcc, v83, v13, vcc
	v_mov_b32_e32 v15, v20
	global_store_dwordx4 v[12:13], v[36:39], off
	v_lshlrev_b64 v[12:13], 4, v[14:15]
	v_mov_b32_e32 v14, v22
	v_mad_u64_u32 v[14:15], s[4:5], s3, v23, v[14:15]
	v_add_co_u32_e32 v12, vcc, v82, v12
	v_addc_co_u32_e32 v13, vcc, v83, v13, vcc
	v_mov_b32_e32 v22, v14
	global_store_dwordx4 v[12:13], v[56:59], off
	v_lshlrev_b64 v[12:13], 4, v[21:22]
	v_add_u32_e32 v22, 0x1d4, v100
	v_add_u32_e32 v20, 0x410, v100
	v_lshrrev_b32_e32 v21, 4, v22
	s_mov_b32 s1, 0x1a41a41b
	v_mad_u64_u32 v[14:15], s[4:5], s2, v20, 0
	v_mul_hi_u32 v23, v21, s1
	s_movk_i32 s0, 0x270
	v_mad_u64_u32 v[20:21], s[4:5], s3, v20, v[15:16]
	v_lshrrev_b32_e32 v15, 2, v23
	v_mad_u32_u24 v23, v15, s0, v22
	v_mad_u64_u32 v[21:22], s[4:5], s2, v23, 0
	v_add_co_u32_e32 v12, vcc, v82, v12
	v_addc_co_u32_e32 v13, vcc, v83, v13, vcc
	v_mov_b32_e32 v15, v20
	global_store_dwordx4 v[12:13], v[74:77], off
	v_lshlrev_b64 v[12:13], 4, v[14:15]
	v_mov_b32_e32 v14, v22
	v_mad_u64_u32 v[14:15], s[4:5], s3, v23, v[14:15]
	v_add_co_u32_e32 v12, vcc, v82, v12
	v_addc_co_u32_e32 v13, vcc, v83, v13, vcc
	v_mov_b32_e32 v22, v14
	global_store_dwordx4 v[12:13], v[70:73], off
	v_lshlrev_b64 v[12:13], 4, v[21:22]
	v_add_u32_e32 v22, 0x208, v100
	v_add_u32_e32 v20, 0x270, v23
	v_lshrrev_b32_e32 v21, 4, v22
	v_mad_u64_u32 v[14:15], s[4:5], s2, v20, 0
	v_mul_hi_u32 v23, v21, s1
	v_add_co_u32_e32 v12, vcc, v82, v12
	v_mad_u64_u32 v[20:21], s[4:5], s3, v20, v[15:16]
	v_lshrrev_b32_e32 v15, 2, v23
	v_mad_u32_u24 v23, v15, s0, v22
	v_mad_u64_u32 v[21:22], s[4:5], s2, v23, 0
	v_addc_co_u32_e32 v13, vcc, v83, v13, vcc
	v_mov_b32_e32 v15, v20
	global_store_dwordx4 v[12:13], v[28:31], off
	v_lshlrev_b64 v[12:13], 4, v[14:15]
	v_mov_b32_e32 v14, v22
	v_mad_u64_u32 v[14:15], s[4:5], s3, v23, v[14:15]
	v_add_u32_e32 v20, 0x270, v23
	v_add_co_u32_e32 v12, vcc, v82, v12
	v_mov_b32_e32 v22, v14
	v_mad_u64_u32 v[14:15], s[4:5], s2, v20, 0
	v_addc_co_u32_e32 v13, vcc, v83, v13, vcc
	global_store_dwordx4 v[12:13], v[24:27], off
	v_lshlrev_b64 v[12:13], 4, v[21:22]
	v_mad_u64_u32 v[20:21], s[4:5], s3, v20, v[15:16]
	v_add_u32_e32 v21, 0x23c, v100
	v_lshrrev_b32_e32 v15, 4, v21
	v_mul_hi_u32 v22, v15, s1
	v_add_co_u32_e32 v12, vcc, v82, v12
	v_addc_co_u32_e32 v13, vcc, v83, v13, vcc
	v_mov_b32_e32 v15, v20
	global_store_dwordx4 v[12:13], v[16:19], off
	v_lshlrev_b64 v[12:13], 4, v[14:15]
	v_lshrrev_b32_e32 v14, 2, v22
	v_mad_u32_u24 v17, v14, s0, v21
	v_mad_u64_u32 v[14:15], s[0:1], s2, v17, 0
	v_add_u32_e32 v18, 0x270, v17
	v_add_co_u32_e32 v12, vcc, v82, v12
	v_mad_u64_u32 v[15:16], s[0:1], s3, v17, v[15:16]
	v_mad_u64_u32 v[16:17], s[0:1], s2, v18, 0
	v_addc_co_u32_e32 v13, vcc, v83, v13, vcc
	global_store_dwordx4 v[12:13], v[8:11], off
	s_nop 0
	v_mov_b32_e32 v10, v17
	v_mad_u64_u32 v[10:11], s[0:1], s3, v18, v[10:11]
	v_lshlrev_b64 v[8:9], 4, v[14:15]
	v_add_co_u32_e32 v8, vcc, v82, v8
	v_addc_co_u32_e32 v9, vcc, v83, v9, vcc
	v_mov_b32_e32 v17, v10
	global_store_dwordx4 v[8:9], v[4:7], off
	s_nop 0
	v_lshlrev_b64 v[4:5], 4, v[16:17]
	v_add_co_u32_e32 v4, vcc, v82, v4
	v_addc_co_u32_e32 v5, vcc, v83, v5, vcc
	global_store_dwordx4 v[4:5], v[0:3], off
.LBB0_23:
	s_endpgm
	.section	.rodata,"a",@progbits
	.p2align	6, 0x0
	.amdhsa_kernel fft_rtc_fwd_len1248_factors_2_2_13_2_3_2_2_wgs_52_tpt_52_halfLds_dp_ip_CI_sbrr_dirReg
		.amdhsa_group_segment_fixed_size 0
		.amdhsa_private_segment_fixed_size 0
		.amdhsa_kernarg_size 88
		.amdhsa_user_sgpr_count 6
		.amdhsa_user_sgpr_private_segment_buffer 1
		.amdhsa_user_sgpr_dispatch_ptr 0
		.amdhsa_user_sgpr_queue_ptr 0
		.amdhsa_user_sgpr_kernarg_segment_ptr 1
		.amdhsa_user_sgpr_dispatch_id 0
		.amdhsa_user_sgpr_flat_scratch_init 0
		.amdhsa_user_sgpr_private_segment_size 0
		.amdhsa_uses_dynamic_stack 0
		.amdhsa_system_sgpr_private_segment_wavefront_offset 0
		.amdhsa_system_sgpr_workgroup_id_x 1
		.amdhsa_system_sgpr_workgroup_id_y 0
		.amdhsa_system_sgpr_workgroup_id_z 0
		.amdhsa_system_sgpr_workgroup_info 0
		.amdhsa_system_vgpr_workitem_id 0
		.amdhsa_next_free_vgpr 215
		.amdhsa_next_free_sgpr 48
		.amdhsa_reserve_vcc 1
		.amdhsa_reserve_flat_scratch 0
		.amdhsa_float_round_mode_32 0
		.amdhsa_float_round_mode_16_64 0
		.amdhsa_float_denorm_mode_32 3
		.amdhsa_float_denorm_mode_16_64 3
		.amdhsa_dx10_clamp 1
		.amdhsa_ieee_mode 1
		.amdhsa_fp16_overflow 0
		.amdhsa_exception_fp_ieee_invalid_op 0
		.amdhsa_exception_fp_denorm_src 0
		.amdhsa_exception_fp_ieee_div_zero 0
		.amdhsa_exception_fp_ieee_overflow 0
		.amdhsa_exception_fp_ieee_underflow 0
		.amdhsa_exception_fp_ieee_inexact 0
		.amdhsa_exception_int_div_zero 0
	.end_amdhsa_kernel
	.text
.Lfunc_end0:
	.size	fft_rtc_fwd_len1248_factors_2_2_13_2_3_2_2_wgs_52_tpt_52_halfLds_dp_ip_CI_sbrr_dirReg, .Lfunc_end0-fft_rtc_fwd_len1248_factors_2_2_13_2_3_2_2_wgs_52_tpt_52_halfLds_dp_ip_CI_sbrr_dirReg
                                        ; -- End function
	.section	.AMDGPU.csdata,"",@progbits
; Kernel info:
; codeLenInByte = 22740
; NumSgprs: 52
; NumVgprs: 215
; ScratchSize: 0
; MemoryBound: 1
; FloatMode: 240
; IeeeMode: 1
; LDSByteSize: 0 bytes/workgroup (compile time only)
; SGPRBlocks: 6
; VGPRBlocks: 53
; NumSGPRsForWavesPerEU: 52
; NumVGPRsForWavesPerEU: 215
; Occupancy: 1
; WaveLimiterHint : 1
; COMPUTE_PGM_RSRC2:SCRATCH_EN: 0
; COMPUTE_PGM_RSRC2:USER_SGPR: 6
; COMPUTE_PGM_RSRC2:TRAP_HANDLER: 0
; COMPUTE_PGM_RSRC2:TGID_X_EN: 1
; COMPUTE_PGM_RSRC2:TGID_Y_EN: 0
; COMPUTE_PGM_RSRC2:TGID_Z_EN: 0
; COMPUTE_PGM_RSRC2:TIDIG_COMP_CNT: 0
	.type	__hip_cuid_d9197795b86023b0,@object ; @__hip_cuid_d9197795b86023b0
	.section	.bss,"aw",@nobits
	.globl	__hip_cuid_d9197795b86023b0
__hip_cuid_d9197795b86023b0:
	.byte	0                               ; 0x0
	.size	__hip_cuid_d9197795b86023b0, 1

	.ident	"AMD clang version 19.0.0git (https://github.com/RadeonOpenCompute/llvm-project roc-6.4.0 25133 c7fe45cf4b819c5991fe208aaa96edf142730f1d)"
	.section	".note.GNU-stack","",@progbits
	.addrsig
	.addrsig_sym __hip_cuid_d9197795b86023b0
	.amdgpu_metadata
---
amdhsa.kernels:
  - .args:
      - .actual_access:  read_only
        .address_space:  global
        .offset:         0
        .size:           8
        .value_kind:     global_buffer
      - .offset:         8
        .size:           8
        .value_kind:     by_value
      - .actual_access:  read_only
        .address_space:  global
        .offset:         16
        .size:           8
        .value_kind:     global_buffer
      - .actual_access:  read_only
        .address_space:  global
        .offset:         24
        .size:           8
        .value_kind:     global_buffer
      - .offset:         32
        .size:           8
        .value_kind:     by_value
      - .actual_access:  read_only
        .address_space:  global
        .offset:         40
        .size:           8
        .value_kind:     global_buffer
      - .actual_access:  read_only
        .address_space:  global
        .offset:         48
        .size:           8
        .value_kind:     global_buffer
      - .offset:         56
        .size:           4
        .value_kind:     by_value
      - .actual_access:  read_only
        .address_space:  global
        .offset:         64
        .size:           8
        .value_kind:     global_buffer
      - .actual_access:  read_only
        .address_space:  global
        .offset:         72
        .size:           8
        .value_kind:     global_buffer
      - .address_space:  global
        .offset:         80
        .size:           8
        .value_kind:     global_buffer
    .group_segment_fixed_size: 0
    .kernarg_segment_align: 8
    .kernarg_segment_size: 88
    .language:       OpenCL C
    .language_version:
      - 2
      - 0
    .max_flat_workgroup_size: 52
    .name:           fft_rtc_fwd_len1248_factors_2_2_13_2_3_2_2_wgs_52_tpt_52_halfLds_dp_ip_CI_sbrr_dirReg
    .private_segment_fixed_size: 0
    .sgpr_count:     52
    .sgpr_spill_count: 0
    .symbol:         fft_rtc_fwd_len1248_factors_2_2_13_2_3_2_2_wgs_52_tpt_52_halfLds_dp_ip_CI_sbrr_dirReg.kd
    .uniform_work_group_size: 1
    .uses_dynamic_stack: false
    .vgpr_count:     215
    .vgpr_spill_count: 0
    .wavefront_size: 64
amdhsa.target:   amdgcn-amd-amdhsa--gfx906
amdhsa.version:
  - 1
  - 2
...

	.end_amdgpu_metadata
